;; amdgpu-corpus repo=ROCm/rocFFT kind=compiled arch=gfx1030 opt=O3
	.text
	.amdgcn_target "amdgcn-amd-amdhsa--gfx1030"
	.amdhsa_code_object_version 6
	.protected	bluestein_single_fwd_len408_dim1_sp_op_CI_CI ; -- Begin function bluestein_single_fwd_len408_dim1_sp_op_CI_CI
	.globl	bluestein_single_fwd_len408_dim1_sp_op_CI_CI
	.p2align	8
	.type	bluestein_single_fwd_len408_dim1_sp_op_CI_CI,@function
bluestein_single_fwd_len408_dim1_sp_op_CI_CI: ; @bluestein_single_fwd_len408_dim1_sp_op_CI_CI
; %bb.0:
	s_load_dwordx4 s[12:15], s[4:5], 0x28
	v_mul_u32_u24_e32 v1, 0xf10, v0
	s_mov_b64 s[22:23], s[2:3]
	s_mov_b64 s[20:21], s[0:1]
	s_add_u32 s20, s20, s7
	v_lshrrev_b32_e32 v1, 16, v1
	s_addc_u32 s21, s21, 0
	v_mad_u64_u32 v[138:139], null, s6, 3, v[1:2]
	v_mov_b32_e32 v139, 0
                                        ; kill: def $vgpr2 killed $sgpr0 killed $exec
	s_mov_b32 s0, exec_lo
	s_waitcnt lgkmcnt(0)
	v_cmpx_gt_u64_e64 s[12:13], v[138:139]
	s_cbranch_execz .LBB0_15
; %bb.1:
	s_clause 0x1
	s_load_dwordx4 s[8:11], s[4:5], 0x18
	s_load_dwordx2 s[6:7], s[4:5], 0x0
	v_mul_lo_u16 v1, v1, 17
	v_sub_nc_u16 v38, v0, v1
	v_and_b32_e32 v143, 0xffff, v38
	v_or_b32_e32 v15, 0x60, v143
	v_or_b32_e32 v120, 0xc0, v143
	;; [unrolled: 1-line block ×3, first 2 shown]
	s_waitcnt lgkmcnt(0)
	s_load_dwordx4 s[0:3], s[8:9], 0x0
	v_or_b32_e32 v121, 0x180, v143
	v_lshlrev_b32_e32 v68, 3, v143
	s_clause 0x2
	global_load_dwordx2 v[180:181], v68, s[6:7]
	global_load_dwordx2 v[139:140], v68, s[6:7] offset:192
	global_load_dwordx2 v[178:179], v68, s[6:7] offset:768
	buffer_store_dword v15, off, s[20:23], 0 ; 4-byte Folded Spill
	v_add_co_u32 v114, s8, s6, v68
	v_add_co_ci_u32_e64 v115, null, s7, 0, s8
	v_lshlrev_b32_e32 v85, 3, v119
	v_lshlrev_b32_e32 v84, 3, v121
	s_waitcnt lgkmcnt(0)
	v_mad_u64_u32 v[0:1], null, s2, v138, 0
	v_mad_u64_u32 v[2:3], null, s0, v143, 0
	;; [unrolled: 1-line block ×9, first 2 shown]
	v_mov_b32_e32 v1, v12
	v_mad_u64_u32 v[15:16], null, s1, v120, v[7:8]
	v_mov_b32_e32 v3, v13
	v_mad_u64_u32 v[16:17], null, s1, v119, v[9:10]
	v_lshlrev_b64 v[0:1], 3, v[0:1]
	v_mov_b32_e32 v5, v14
	v_lshlrev_b64 v[2:3], 3, v[2:3]
	s_mul_i32 s2, s1, 24
	s_mul_hi_u32 s9, s0, 24
	v_mov_b32_e32 v7, v15
	v_add_co_u32 v22, vcc_lo, s14, v0
	v_add_co_ci_u32_e32 v23, vcc_lo, s15, v1, vcc_lo
	v_mov_b32_e32 v9, v16
	v_add_co_u32 v2, vcc_lo, v22, v2
	s_mul_i32 s8, s0, 24
	s_add_i32 s9, s9, s2
	v_lshlrev_b64 v[4:5], 3, v[4:5]
	v_add_co_ci_u32_e32 v3, vcc_lo, v23, v3, vcc_lo
	s_lshl_b64 s[12:13], s[8:9], 3
	v_lshlrev_b64 v[0:1], 3, v[6:7]
	v_lshlrev_b64 v[6:7], 3, v[8:9]
	v_add_co_u32 v8, vcc_lo, v2, s12
	v_add_co_ci_u32_e32 v9, vcc_lo, s13, v3, vcc_lo
	v_add_co_u32 v4, vcc_lo, v22, v4
	v_mad_u64_u32 v[11:12], null, s1, v121, v[11:12]
	v_add_co_ci_u32_e32 v5, vcc_lo, v23, v5, vcc_lo
	v_add_co_u32 v12, vcc_lo, v8, s12
	v_add_co_ci_u32_e32 v13, vcc_lo, s13, v9, vcc_lo
	v_add_co_u32 v0, vcc_lo, v22, v0
	;; [unrolled: 2-line block ×3, first 2 shown]
	v_add_co_ci_u32_e32 v15, vcc_lo, s13, v13, vcc_lo
	s_clause 0x5
	global_load_dwordx2 v[16:17], v[4:5], off
	global_load_dwordx2 v[2:3], v[2:3], off
	;; [unrolled: 1-line block ×6, first 2 shown]
	global_load_dwordx2 v[52:53], v68, s[6:7] offset:1536
	v_add_co_u32 v0, vcc_lo, v22, v6
	v_lshlrev_b64 v[4:5], 3, v[10:11]
	v_add_co_ci_u32_e32 v1, vcc_lo, v23, v7, vcc_lo
	v_add_co_u32 v136, vcc_lo, 0x800, v114
	v_add_co_ci_u32_e32 v137, vcc_lo, 0, v115, vcc_lo
	global_load_dwordx2 v[6:7], v[0:1], off
	v_add_co_u32 v0, vcc_lo, v22, v4
	v_add_co_ci_u32_e32 v1, vcc_lo, v23, v5, vcc_lo
	s_clause 0x2
	global_load_dwordx2 v[132:133], v85, s[6:7]
	global_load_dwordx2 v[48:49], v[136:137], off offset:448
	global_load_dwordx2 v[125:126], v[136:137], off offset:640
	global_load_dwordx2 v[10:11], v[0:1], off
	s_clause 0x1
	global_load_dwordx2 v[134:135], v[136:137], off offset:64
	global_load_dwordx2 v[50:51], v84, s[6:7]
	s_mul_i32 s16, s1, 0x180
	s_mul_hi_u32 s2, s0, 0x180
	s_mul_i32 s3, s0, 0x180
	s_add_i32 s2, s2, s16
	v_add_co_u32 v0, vcc_lo, v14, s3
	v_add_co_ci_u32_e32 v1, vcc_lo, s2, v15, vcc_lo
	s_clause 0x1
	global_load_dwordx2 v[146:147], v68, s[6:7] offset:384
	global_load_dwordx2 v[141:142], v68, s[6:7] offset:576
	v_add_co_u32 v4, vcc_lo, v0, s12
	v_add_co_ci_u32_e32 v5, vcc_lo, s13, v1, vcc_lo
	global_load_dwordx2 v[14:15], v[0:1], off
	v_add_co_u32 v0, vcc_lo, v4, s12
	v_add_co_ci_u32_e32 v1, vcc_lo, s13, v5, vcc_lo
	global_load_dwordx2 v[24:25], v[4:5], off
	v_add_co_u32 v22, vcc_lo, v0, s3
	v_add_co_ci_u32_e32 v23, vcc_lo, s2, v1, vcc_lo
	global_load_dwordx2 v[127:128], v68, s[6:7] offset:960
	v_add_co_u32 v4, vcc_lo, v22, s12
	v_add_co_ci_u32_e32 v5, vcc_lo, s13, v23, vcc_lo
	global_load_dwordx2 v[26:27], v[0:1], off
	s_clause 0x1
	global_load_dwordx2 v[122:123], v68, s[6:7] offset:1152
	global_load_dwordx2 v[148:149], v68, s[6:7] offset:1344
	global_load_dwordx2 v[22:23], v[22:23], off
	global_load_dwordx2 v[28:29], v[4:5], off
	v_add_co_u32 v0, vcc_lo, v4, s12
	v_add_co_ci_u32_e32 v1, vcc_lo, s13, v5, vcc_lo
	s_clause 0x1
	global_load_dwordx2 v[144:145], v68, s[6:7] offset:1728
	global_load_dwordx2 v[112:113], v68, s[6:7] offset:1920
	v_add_co_u32 v4, vcc_lo, v0, s3
	v_add_co_ci_u32_e32 v5, vcc_lo, s2, v1, vcc_lo
	global_load_dwordx2 v[30:31], v[0:1], off
	v_add_co_u32 v32, vcc_lo, v4, s12
	v_add_co_ci_u32_e32 v33, vcc_lo, s13, v5, vcc_lo
	global_load_dwordx2 v[34:35], v[4:5], off
	;; [unrolled: 3-line block ×3, first 2 shown]
	global_load_dwordx2 v[129:130], v[136:137], off offset:832
	global_load_dwordx2 v[36:37], v[0:1], off
	s_load_dwordx4 s[8:11], s[10:11], 0x0
	v_mul_hi_u32 v4, 0xaaaaaaab, v138
	v_cmp_gt_u16_e32 vcc_lo, 7, v38
	s_load_dwordx2 s[2:3], s[4:5], 0x38
	v_lshrrev_b32_e32 v4, 1, v4
	v_lshl_add_u32 v4, v4, 1, v4
	v_sub_nc_u32_e32 v4, v138, v4
	v_mul_u32_u24_e32 v69, 0x198, v4
	v_lshlrev_b32_e32 v116, 3, v69
	v_add_nc_u32_e32 v177, v68, v116
	v_add_nc_u32_e32 v5, 0x400, v177
	;; [unrolled: 1-line block ×3, first 2 shown]
	s_waitcnt vmcnt(30)
	v_mul_f32_e32 v40, v17, v179
	s_waitcnt vmcnt(29)
	v_mul_f32_e32 v38, v3, v181
	v_mul_f32_e32 v39, v2, v181
	;; [unrolled: 1-line block ×3, first 2 shown]
	s_waitcnt vmcnt(24)
	v_mul_f32_e32 v42, v21, v53
	v_mul_f32_e32 v43, v20, v53
	v_fmac_f32_e32 v38, v2, v180
	v_fma_f32 v39, v3, v180, -v39
	v_mul_f32_e32 v2, v9, v140
	v_fmac_f32_e32 v42, v20, v52
	buffer_store_dword v52, off, s[20:23], 0 offset:20 ; 4-byte Folded Spill
	buffer_store_dword v53, off, s[20:23], 0 offset:24 ; 4-byte Folded Spill
	v_mul_f32_e32 v3, v8, v140
	v_fmac_f32_e32 v40, v16, v178
	v_fmac_f32_e32 v2, v8, v139
	v_fma_f32 v41, v17, v178, -v41
	v_fma_f32 v3, v9, v139, -v3
	s_waitcnt vmcnt(22)
	v_mul_f32_e32 v44, v7, v133
	s_waitcnt vmcnt(17)
	v_mul_f32_e32 v46, v11, v51
	v_mul_f32_e32 v47, v10, v51
	;; [unrolled: 1-line block ×3, first 2 shown]
	v_fmac_f32_e32 v44, v6, v132
	v_fmac_f32_e32 v46, v10, v50
	buffer_store_dword v50, off, s[20:23], 0 offset:12 ; 4-byte Folded Spill
	buffer_store_dword v51, off, s[20:23], 0 offset:16 ; 4-byte Folded Spill
	v_fma_f32 v45, v7, v132, -v45
	s_waitcnt vmcnt(16)
	v_mul_f32_e32 v6, v13, v147
	v_mul_f32_e32 v7, v12, v147
	s_waitcnt vmcnt(15)
	v_mul_f32_e32 v8, v19, v142
	v_mul_f32_e32 v9, v18, v142
	v_fmac_f32_e32 v6, v12, v146
	v_fma_f32 v7, v13, v146, -v7
	v_fmac_f32_e32 v8, v18, v141
	v_fma_f32 v9, v19, v141, -v9
	ds_write2_b64 v177, v[38:39], v[2:3] offset1:24
	ds_write2_b64 v177, v[6:7], v[8:9] offset0:48 offset1:72
	s_waitcnt vmcnt(12)
	v_mul_f32_e32 v10, v15, v128
	s_waitcnt vmcnt(10)
	v_mul_f32_e32 v3, v24, v123
	;; [unrolled: 2-line block ×3, first 2 shown]
	v_mul_f32_e32 v12, v25, v123
	v_fmac_f32_e32 v10, v14, v127
	v_mul_f32_e32 v2, v27, v149
	v_fma_f32 v13, v25, v122, -v3
	v_fma_f32 v3, v27, v148, -v7
	s_waitcnt vmcnt(6)
	v_mul_f32_e32 v9, v22, v145
	v_mul_f32_e32 v6, v23, v145
	s_waitcnt vmcnt(5)
	v_mul_f32_e32 v8, v29, v113
	v_fmac_f32_e32 v12, v24, v122
	v_fmac_f32_e32 v2, v26, v148
	v_fma_f32 v7, v23, v144, -v9
	v_mul_f32_e32 v9, v28, v113
	v_fmac_f32_e32 v6, v22, v144
	v_fmac_f32_e32 v8, v28, v112
	v_fma_f32 v9, v29, v112, -v9
	s_waitcnt vmcnt(2)
	v_mul_f32_e32 v16, v33, v126
	v_mul_f32_e32 v17, v32, v126
	s_waitcnt vmcnt(0)
	v_mul_f32_e32 v18, v37, v130
	v_mul_f32_e32 v19, v36, v130
	v_fmac_f32_e32 v16, v32, v125
	v_fma_f32 v17, v33, v125, -v17
	v_fmac_f32_e32 v18, v36, v129
	v_fma_f32 v19, v37, v129, -v19
	v_fma_f32 v43, v21, v52, -v43
	;; [unrolled: 1-line block ×3, first 2 shown]
	v_mul_f32_e32 v11, v14, v128
	v_mul_f32_e32 v14, v35, v49
	v_fma_f32 v11, v15, v127, -v11
	v_mul_f32_e32 v15, v34, v49
	v_fmac_f32_e32 v14, v34, v48
	ds_write2_b64 v177, v[40:41], v[10:11] offset0:96 offset1:120
	buffer_store_dword v48, off, s[20:23], 0 offset:4 ; 4-byte Folded Spill
	buffer_store_dword v49, off, s[20:23], 0 offset:8 ; 4-byte Folded Spill
	v_mul_f32_e32 v10, v31, v135
	v_mul_f32_e32 v11, v30, v135
	v_fmac_f32_e32 v10, v30, v134
	v_fma_f32 v11, v31, v134, -v11
	v_fma_f32 v15, v35, v48, -v15
	ds_write2_b64 v177, v[12:13], v[2:3] offset0:144 offset1:168
	ds_write2_b64 v177, v[42:43], v[6:7] offset0:192 offset1:216
	;; [unrolled: 1-line block ×5, first 2 shown]
	ds_write_b64 v177, v[46:47] offset:3072
	s_and_saveexec_b32 s14, vcc_lo
	s_cbranch_execz .LBB0_3
; %bb.2:
	v_mad_u64_u32 v[0:1], null, 0xfffff548, s0, v[0:1]
	s_mulk_i32 s1, 0xf548
	s_clause 0x3
	global_load_dwordx2 v[8:9], v[114:115], off offset:136
	global_load_dwordx2 v[10:11], v[114:115], off offset:328
	;; [unrolled: 1-line block ×4, first 2 shown]
	s_sub_i32 s0, s1, s0
	s_clause 0x3
	global_load_dwordx2 v[18:19], v[114:115], off offset:904
	global_load_dwordx2 v[20:21], v[114:115], off offset:1096
	;; [unrolled: 1-line block ×4, first 2 shown]
	v_add_nc_u32_e32 v1, s0, v1
	v_add_co_u32 v2, s0, v0, s12
	v_add_co_ci_u32_e64 v3, s0, s13, v1, s0
	v_add_co_u32 v6, s0, v2, s12
	global_load_dwordx2 v[0:1], v[0:1], off
	v_add_co_ci_u32_e64 v7, s0, s13, v3, s0
	v_add_co_u32 v16, s0, v6, s12
	global_load_dwordx2 v[2:3], v[2:3], off
	;; [unrolled: 3-line block ×5, first 2 shown]
	v_add_co_ci_u32_e64 v31, s0, s13, v29, s0
	v_add_co_u32 v32, s0, v30, s12
	v_add_co_ci_u32_e64 v33, s0, s13, v31, s0
	v_add_co_u32 v34, s0, v32, s12
	v_add_co_ci_u32_e64 v35, s0, s13, v33, s0
	v_add_co_u32 v36, s0, v34, s12
	v_add_co_ci_u32_e64 v37, s0, s13, v35, s0
	global_load_dwordx2 v[28:29], v[28:29], off
	global_load_dwordx2 v[30:31], v[30:31], off
	;; [unrolled: 1-line block ×5, first 2 shown]
	v_add_co_u32 v36, s0, v36, s12
	v_add_co_ci_u32_e64 v37, s0, s13, v37, s0
	s_clause 0x1
	global_load_dwordx2 v[40:41], v[114:115], off offset:1672
	global_load_dwordx2 v[42:43], v[114:115], off offset:1864
	v_add_co_u32 v44, s0, v36, s12
	v_add_co_ci_u32_e64 v45, s0, s13, v37, s0
	global_load_dwordx2 v[36:37], v[36:37], off
	v_add_co_u32 v46, s0, v44, s12
	v_add_co_ci_u32_e64 v47, s0, s13, v45, s0
	global_load_dwordx2 v[44:45], v[44:45], off
	v_add_co_u32 v48, s0, v46, s12
	v_add_co_ci_u32_e64 v49, s0, s13, v47, s0
	s_clause 0x1
	global_load_dwordx2 v[50:51], v[136:137], off offset:8
	global_load_dwordx2 v[52:53], v[136:137], off offset:200
	v_add_co_u32 v54, s0, v48, s12
	v_add_co_ci_u32_e64 v55, s0, s13, v49, s0
	global_load_dwordx2 v[46:47], v[46:47], off
	global_load_dwordx2 v[48:49], v[48:49], off
	s_clause 0x1
	global_load_dwordx2 v[56:57], v[136:137], off offset:392
	global_load_dwordx2 v[58:59], v[136:137], off offset:584
	global_load_dwordx2 v[60:61], v[54:55], off
	v_add_co_u32 v54, s0, v54, s12
	v_add_co_ci_u32_e64 v55, s0, s13, v55, s0
	global_load_dwordx2 v[62:63], v[136:137], off offset:776
	v_add_co_u32 v64, s0, v54, s12
	v_add_co_ci_u32_e64 v65, s0, s13, v55, s0
	global_load_dwordx2 v[54:55], v[54:55], off
	s_clause 0x1
	global_load_dwordx2 v[66:67], v[136:137], off offset:968
	global_load_dwordx2 v[70:71], v[136:137], off offset:1160
	global_load_dwordx2 v[64:65], v[64:65], off
	s_waitcnt vmcnt(25)
	v_mul_f32_e32 v72, v1, v9
	v_mul_f32_e32 v73, v0, v9
	s_waitcnt vmcnt(24)
	v_mul_f32_e32 v9, v3, v11
	v_fmac_f32_e32 v72, v0, v8
	v_fma_f32 v73, v1, v8, -v73
	v_mul_f32_e32 v1, v2, v11
	v_fmac_f32_e32 v9, v2, v10
	s_waitcnt vmcnt(23)
	v_mul_f32_e32 v0, v7, v13
	v_mul_f32_e32 v8, v6, v13
	v_fma_f32 v10, v3, v10, -v1
	s_waitcnt vmcnt(22)
	v_mul_f32_e32 v2, v17, v15
	v_mul_f32_e32 v11, v16, v15
	v_fmac_f32_e32 v0, v6, v12
	v_fma_f32 v1, v7, v12, -v8
	ds_write2_b64 v177, v[72:73], v[9:10] offset0:17 offset1:41
	v_fmac_f32_e32 v2, v16, v14
	v_fma_f32 v3, v17, v14, -v11
	s_waitcnt vmcnt(21)
	v_mul_f32_e32 v6, v27, v19
	v_mul_f32_e32 v7, v26, v19
	ds_write2_b64 v177, v[0:1], v[2:3] offset0:65 offset1:89
	v_fmac_f32_e32 v6, v26, v18
	v_fma_f32 v7, v27, v18, -v7
	s_waitcnt vmcnt(20)
	v_mul_f32_e32 v8, v29, v21
	v_mul_f32_e32 v1, v28, v21
	s_waitcnt vmcnt(19)
	v_mul_f32_e32 v0, v31, v23
	v_mul_f32_e32 v3, v30, v23
	;; [unrolled: 3-line block ×3, first 2 shown]
	v_fmac_f32_e32 v8, v28, v20
	v_fma_f32 v9, v29, v20, -v1
	v_fmac_f32_e32 v0, v30, v22
	v_fma_f32 v1, v31, v22, -v3
	;; [unrolled: 2-line block ×3, first 2 shown]
	ds_write2_b64 v177, v[6:7], v[8:9] offset0:113 offset1:137
	s_waitcnt vmcnt(15)
	v_mul_f32_e32 v10, v35, v41
	v_mul_f32_e32 v11, v34, v41
	s_waitcnt vmcnt(14)
	v_mul_f32_e32 v6, v39, v43
	ds_write2_b64 v177, v[0:1], v[2:3] offset0:161 offset1:185
	v_mul_f32_e32 v1, v38, v43
	v_fmac_f32_e32 v10, v34, v40
	v_fma_f32 v11, v35, v40, -v11
	v_fmac_f32_e32 v6, v38, v42
	v_fma_f32 v7, v39, v42, -v1
	s_waitcnt vmcnt(11)
	v_mul_f32_e32 v3, v36, v51
	s_waitcnt vmcnt(10)
	v_mul_f32_e32 v9, v44, v53
	v_mul_f32_e32 v0, v37, v51
	;; [unrolled: 1-line block ×3, first 2 shown]
	s_waitcnt vmcnt(7)
	v_mul_f32_e32 v8, v47, v57
	v_fma_f32 v1, v37, v50, -v3
	v_fma_f32 v3, v45, v52, -v9
	v_mul_f32_e32 v9, v46, v57
	s_waitcnt vmcnt(6)
	v_mul_f32_e32 v12, v49, v59
	v_mul_f32_e32 v13, v48, v59
	v_fmac_f32_e32 v0, v36, v50
	s_waitcnt vmcnt(4)
	v_mul_f32_e32 v14, v61, v63
	v_mul_f32_e32 v15, v60, v63
	v_fmac_f32_e32 v2, v44, v52
	s_waitcnt vmcnt(2)
	v_mul_f32_e32 v16, v55, v67
	v_mul_f32_e32 v17, v54, v67
	s_waitcnt vmcnt(0)
	v_mul_f32_e32 v18, v65, v71
	v_mul_f32_e32 v19, v64, v71
	v_fmac_f32_e32 v8, v46, v56
	v_fma_f32 v9, v47, v56, -v9
	v_fmac_f32_e32 v12, v48, v58
	v_fma_f32 v13, v49, v58, -v13
	;; [unrolled: 2-line block ×5, first 2 shown]
	ds_write2_b64 v177, v[10:11], v[6:7] offset0:209 offset1:233
	ds_write2_b64 v4, v[0:1], v[2:3] offset0:1 offset1:25
	;; [unrolled: 1-line block ×4, first 2 shown]
	ds_write_b64 v177, v[18:19] offset:3208
.LBB0_3:
	s_or_b32 exec_lo, exec_lo, s14
	s_waitcnt lgkmcnt(0)
	s_waitcnt_vscnt null, 0x0
	s_barrier
	buffer_gl0_inv
	ds_read2_b64 v[60:63], v177 offset1:24
	ds_read2_b64 v[52:55], v177 offset0:48 offset1:72
	ds_read2_b64 v[44:47], v177 offset0:96 offset1:120
	;; [unrolled: 1-line block ×7, first 2 shown]
	ds_read_b64 v[66:67], v177 offset:3072
	s_load_dwordx2 s[0:1], s[4:5], 0x8
	v_mov_b32_e32 v8, 0
	v_mov_b32_e32 v9, 0
                                        ; implicit-def: $vgpr22
                                        ; implicit-def: $vgpr16
                                        ; implicit-def: $vgpr12
                                        ; implicit-def: $vgpr4
                                        ; implicit-def: $vgpr64
                                        ; implicit-def: $vgpr26
                                        ; implicit-def: $vgpr30
                                        ; implicit-def: $vgpr34
	s_and_saveexec_b32 s4, vcc_lo
	s_cbranch_execz .LBB0_5
; %bb.4:
	v_add_nc_u32_e32 v4, 0x800, v177
	ds_read2_b64 v[8:11], v177 offset0:17 offset1:41
	ds_read2_b64 v[32:35], v177 offset0:65 offset1:89
	;; [unrolled: 1-line block ×8, first 2 shown]
	ds_read_b64 v[64:65], v177 offset:3208
.LBB0_5:
	s_or_b32 exec_lo, exec_lo, s4
	s_waitcnt lgkmcnt(0)
	v_add_f32_e32 v70, v60, v62
	v_add_f32_e32 v71, v61, v63
	v_sub_f32_e32 v73, v63, v67
	v_add_f32_e32 v75, v67, v63
	v_add_f32_e32 v72, v66, v62
	;; [unrolled: 1-line block ×4, first 2 shown]
	v_sub_f32_e32 v74, v62, v66
	v_mul_f32_e32 v62, 0xbeb8f4ab, v73
	v_mul_f32_e32 v80, 0xbf7ee86f, v73
	v_add_f32_e32 v63, v70, v54
	v_add_f32_e32 v70, v71, v55
	v_mul_f32_e32 v81, 0xbf7ee86f, v74
	v_fma_f32 v83, 0x3f6eb680, v72, -v62
	v_fmac_f32_e32 v62, 0x3f6eb680, v72
	v_add_f32_e32 v63, v63, v44
	v_add_f32_e32 v70, v70, v45
	v_mul_f32_e32 v77, 0xbf2c7751, v74
	v_mul_f32_e32 v78, 0xbf65296c, v73
	v_add_f32_e32 v94, v60, v62
	v_add_f32_e32 v63, v63, v46
	;; [unrolled: 1-line block ×3, first 2 shown]
	v_mul_f32_e32 v79, 0xbf65296c, v74
	v_mul_f32_e32 v82, 0xbf763a35, v73
	v_fma_f32 v91, 0x3dbcf732, v72, -v80
	v_add_f32_e32 v63, v63, v36
	v_add_f32_e32 v70, v70, v37
	v_fmamk_f32 v92, v75, 0x3dbcf732, v81
	v_fmac_f32_e32 v80, 0x3dbcf732, v72
	v_fma_f32 v81, 0x3dbcf732, v75, -v81
	v_add_f32_e32 v63, v63, v38
	v_add_f32_e32 v70, v70, v39
	v_mul_f32_e32 v71, 0xbeb8f4ab, v74
	v_mul_f32_e32 v76, 0xbf2c7751, v73
	v_fmamk_f32 v88, v75, 0x3f3d2fb0, v77
	v_add_f32_e32 v63, v63, v0
	v_add_f32_e32 v70, v70, v1
	v_fma_f32 v89, 0x3ee437d1, v72, -v78
	v_fmamk_f32 v90, v75, 0x3ee437d1, v79
	v_fma_f32 v93, 0xbe8c1d8e, v72, -v82
	v_add_f32_e32 v63, v63, v2
	v_add_f32_e32 v70, v70, v3
	v_mul_f32_e32 v96, 0xbf4c4adb, v74
	v_mul_f32_e32 v98, 0xbf06c442, v73
	;; [unrolled: 1-line block ×3, first 2 shown]
	v_add_f32_e32 v63, v63, v40
	v_add_f32_e32 v70, v70, v41
	v_sub_f32_e32 v103, v53, v59
	v_add_f32_e32 v105, v58, v52
	v_sub_f32_e32 v52, v52, v58
	v_add_f32_e32 v63, v63, v42
	v_add_f32_e32 v70, v70, v43
	v_fmamk_f32 v86, v75, 0x3f6eb680, v71
	v_fma_f32 v71, 0x3f6eb680, v75, -v71
	v_fma_f32 v87, 0x3f3d2fb0, v72, -v76
	v_add_f32_e32 v63, v63, v48
	v_add_f32_e32 v70, v70, v49
	v_fmac_f32_e32 v76, 0x3f3d2fb0, v72
	v_fma_f32 v77, 0x3f3d2fb0, v75, -v77
	v_fmac_f32_e32 v78, 0x3ee437d1, v72
	v_add_f32_e32 v62, v63, v50
	v_add_f32_e32 v63, v70, v51
	v_fma_f32 v79, 0x3ee437d1, v75, -v79
	v_add_f32_e32 v70, v61, v88
	v_add_f32_e32 v88, v60, v89
	;; [unrolled: 1-line block ×10, first 2 shown]
	v_fmac_f32_e32 v82, 0xbe8c1d8e, v72
	v_fmamk_f32 v97, v75, 0xbf1a4643, v96
	v_add_f32_e32 v62, v62, v66
	v_add_f32_e32 v63, v63, v67
	v_mul_f32_e32 v66, 0xbf763a35, v74
	v_add_f32_e32 v67, v60, v80
	v_add_f32_e32 v80, v61, v81
	v_mul_f32_e32 v81, 0xbf4c4adb, v73
	v_mul_f32_e32 v73, 0xbe3c28d5, v73
	;; [unrolled: 1-line block ×3, first 2 shown]
	v_fmamk_f32 v93, v75, 0xbe8c1d8e, v66
	v_fma_f32 v66, 0xbe8c1d8e, v75, -v66
	v_fma_f32 v95, 0xbf1a4643, v72, -v81
	v_fmac_f32_e32 v81, 0xbf1a4643, v72
	v_fma_f32 v96, 0xbf1a4643, v75, -v96
	v_fma_f32 v100, 0xbf59a7d5, v72, -v98
	v_fmamk_f32 v101, v75, 0xbf59a7d5, v99
	v_fmac_f32_e32 v98, 0xbf59a7d5, v72
	v_fma_f32 v99, 0xbf59a7d5, v75, -v99
	v_fma_f32 v102, 0xbf7ba420, v72, -v73
	v_fmamk_f32 v104, v75, 0xbf7ba420, v74
	v_mul_f32_e32 v106, 0xbf2c7751, v103
	v_fmac_f32_e32 v73, 0xbf7ba420, v72
	v_fma_f32 v58, 0xbf7ba420, v75, -v74
	v_add_f32_e32 v53, v59, v53
	v_mul_f32_e32 v72, 0xbf2c7751, v52
	v_add_f32_e32 v83, v60, v83
	v_add_f32_e32 v86, v61, v86
	;; [unrolled: 1-line block ×20, first 2 shown]
	v_fma_f32 v59, 0x3f3d2fb0, v105, -v106
	v_add_f32_e32 v74, v61, v104
	v_add_f32_e32 v60, v60, v73
	;; [unrolled: 1-line block ×3, first 2 shown]
	v_fmamk_f32 v61, v53, 0x3f3d2fb0, v72
	v_mul_f32_e32 v73, 0xbf7ee86f, v103
	v_fmac_f32_e32 v106, 0x3f3d2fb0, v105
	v_fma_f32 v72, 0x3f3d2fb0, v53, -v72
	v_mul_f32_e32 v75, 0xbf7ee86f, v52
	v_add_f32_e32 v59, v59, v83
	v_add_f32_e32 v61, v61, v86
	v_fma_f32 v83, 0x3dbcf732, v105, -v73
	v_add_f32_e32 v86, v106, v94
	v_add_f32_e32 v71, v72, v71
	v_fmamk_f32 v72, v53, 0x3dbcf732, v75
	v_mul_f32_e32 v94, 0xbf4c4adb, v103
	v_fmac_f32_e32 v73, 0x3dbcf732, v105
	v_add_f32_e32 v83, v83, v87
	v_fma_f32 v75, 0x3dbcf732, v53, -v75
	v_add_f32_e32 v70, v72, v70
	v_fma_f32 v72, 0xbf1a4643, v105, -v94
	v_mul_f32_e32 v87, 0xbf4c4adb, v52
	v_add_f32_e32 v73, v73, v76
	v_mul_f32_e32 v76, 0xbe3c28d5, v103
	v_add_f32_e32 v75, v75, v77
	v_add_f32_e32 v72, v72, v88
	v_fmamk_f32 v77, v53, 0xbf1a4643, v87
	v_fmac_f32_e32 v94, 0xbf1a4643, v105
	v_fma_f32 v87, 0xbf1a4643, v53, -v87
	v_fma_f32 v88, 0xbf7ba420, v105, -v76
	v_mul_f32_e32 v104, 0xbe3c28d5, v52
	v_add_f32_e32 v77, v77, v89
	v_add_f32_e32 v78, v94, v78
	;; [unrolled: 1-line block ×4, first 2 shown]
	v_fmamk_f32 v88, v53, 0xbf7ba420, v104
	v_mul_f32_e32 v89, 0x3f06c442, v103
	v_fmac_f32_e32 v76, 0xbf7ba420, v105
	v_fma_f32 v90, 0xbf7ba420, v53, -v104
	v_mul_f32_e32 v94, 0x3f06c442, v52
	v_add_f32_e32 v88, v88, v91
	v_fma_f32 v91, 0xbf59a7d5, v105, -v89
	v_add_f32_e32 v67, v76, v67
	v_add_f32_e32 v76, v90, v80
	v_fmamk_f32 v80, v53, 0xbf59a7d5, v94
	v_mul_f32_e32 v90, 0x3f763a35, v103
	v_add_f32_e32 v91, v91, v92
	v_fmac_f32_e32 v89, 0xbf59a7d5, v105
	v_fma_f32 v92, 0xbf59a7d5, v53, -v94
	v_add_f32_e32 v80, v80, v93
	v_fma_f32 v93, 0xbe8c1d8e, v105, -v90
	v_mul_f32_e32 v94, 0x3f763a35, v52
	v_add_f32_e32 v82, v89, v82
	v_add_f32_e32 v66, v92, v66
	v_mul_f32_e32 v89, 0x3f65296c, v103
	v_add_f32_e32 v92, v93, v95
	v_fmamk_f32 v93, v53, 0xbe8c1d8e, v94
	v_fmac_f32_e32 v90, 0xbe8c1d8e, v105
	v_fma_f32 v94, 0xbe8c1d8e, v53, -v94
	v_fma_f32 v95, 0x3ee437d1, v105, -v89
	v_mul_f32_e32 v104, 0x3f65296c, v52
	v_add_f32_e32 v93, v93, v97
	v_add_f32_e32 v81, v90, v81
	;; [unrolled: 1-line block ×3, first 2 shown]
	v_mul_f32_e32 v96, 0x3eb8f4ab, v103
	v_add_f32_e32 v94, v95, v100
	v_fmac_f32_e32 v89, 0x3ee437d1, v105
	v_fma_f32 v97, 0x3ee437d1, v53, -v104
	v_fmamk_f32 v95, v53, 0x3ee437d1, v104
	v_fma_f32 v100, 0x3f6eb680, v105, -v96
	v_mul_f32_e32 v52, 0x3eb8f4ab, v52
	v_add_f32_e32 v89, v89, v98
	v_add_f32_e32 v97, v97, v99
	v_sub_f32_e32 v98, v55, v57
	v_add_f32_e32 v99, v100, v102
	v_add_f32_e32 v100, v56, v54
	v_sub_f32_e32 v54, v54, v56
	v_add_f32_e32 v95, v95, v101
	v_fmamk_f32 v101, v53, 0x3f6eb680, v52
	v_mul_f32_e32 v56, 0xbf65296c, v98
	v_fmac_f32_e32 v96, 0x3f6eb680, v105
	v_fma_f32 v52, 0x3f6eb680, v53, -v52
	v_add_f32_e32 v53, v57, v55
	v_mul_f32_e32 v55, 0xbf65296c, v54
	v_fma_f32 v57, 0x3ee437d1, v100, -v56
	v_add_f32_e32 v60, v96, v60
	v_add_f32_e32 v52, v52, v58
	v_mul_f32_e32 v58, 0xbf4c4adb, v98
	v_fmamk_f32 v96, v53, 0x3ee437d1, v55
	v_add_f32_e32 v57, v57, v59
	v_fmac_f32_e32 v56, 0x3ee437d1, v100
	v_fma_f32 v55, 0x3ee437d1, v53, -v55
	v_fma_f32 v59, 0xbf1a4643, v100, -v58
	v_add_f32_e32 v61, v96, v61
	v_mul_f32_e32 v96, 0xbf4c4adb, v54
	v_add_f32_e32 v56, v56, v86
	v_add_f32_e32 v55, v55, v71
	;; [unrolled: 1-line block ×3, first 2 shown]
	v_mul_f32_e32 v71, 0x3e3c28d5, v98
	v_fmamk_f32 v83, v53, 0xbf1a4643, v96
	v_fmac_f32_e32 v58, 0xbf1a4643, v100
	v_fma_f32 v86, 0xbf1a4643, v53, -v96
	v_mul_f32_e32 v96, 0x3e3c28d5, v54
	v_add_f32_e32 v74, v101, v74
	v_fma_f32 v101, 0xbf7ba420, v100, -v71
	v_add_f32_e32 v70, v83, v70
	v_add_f32_e32 v58, v58, v73
	v_add_f32_e32 v73, v86, v75
	v_fmamk_f32 v75, v53, 0xbf7ba420, v96
	v_mul_f32_e32 v83, 0x3f763a35, v98
	v_fmac_f32_e32 v71, 0xbf7ba420, v100
	v_fma_f32 v86, 0xbf7ba420, v53, -v96
	v_add_f32_e32 v72, v101, v72
	v_add_f32_e32 v75, v75, v77
	v_mul_f32_e32 v77, 0x3f763a35, v54
	v_fma_f32 v96, 0xbe8c1d8e, v100, -v83
	v_add_f32_e32 v71, v71, v78
	v_add_f32_e32 v78, v86, v79
	v_mul_f32_e32 v79, 0x3f2c7751, v98
	v_fmamk_f32 v86, v53, 0xbe8c1d8e, v77
	v_add_f32_e32 v87, v96, v87
	v_fmac_f32_e32 v83, 0xbe8c1d8e, v100
	v_fma_f32 v77, 0xbe8c1d8e, v53, -v77
	v_fma_f32 v96, 0x3f3d2fb0, v100, -v79
	v_add_f32_e32 v86, v86, v88
	v_mul_f32_e32 v88, 0x3f2c7751, v54
	v_add_f32_e32 v67, v83, v67
	v_add_f32_e32 v76, v77, v76
	;; [unrolled: 1-line block ×3, first 2 shown]
	v_mul_f32_e32 v83, 0xbeb8f4ab, v98
	v_fmac_f32_e32 v79, 0x3f3d2fb0, v100
	v_mul_f32_e32 v96, 0xbeb8f4ab, v54
	v_fmamk_f32 v91, v53, 0x3f3d2fb0, v88
	v_fma_f32 v88, 0x3f3d2fb0, v53, -v88
	v_fma_f32 v101, 0x3f6eb680, v100, -v83
	v_add_f32_e32 v79, v79, v82
	v_fmamk_f32 v82, v53, 0x3f6eb680, v96
	v_add_f32_e32 v80, v91, v80
	v_add_f32_e32 v66, v88, v66
	;; [unrolled: 1-line block ×3, first 2 shown]
	v_mul_f32_e32 v91, 0xbf7ee86f, v98
	v_fmac_f32_e32 v83, 0x3f6eb680, v100
	v_fma_f32 v92, 0x3f6eb680, v53, -v96
	v_add_f32_e32 v82, v82, v93
	v_mul_f32_e32 v93, 0xbf7ee86f, v54
	v_fma_f32 v96, 0x3dbcf732, v100, -v91
	v_add_f32_e32 v81, v83, v81
	v_add_f32_e32 v83, v92, v90
	v_mul_f32_e32 v90, 0xbf06c442, v98
	v_fmamk_f32 v92, v53, 0x3dbcf732, v93
	v_fmac_f32_e32 v91, 0x3dbcf732, v100
	v_fma_f32 v93, 0x3dbcf732, v53, -v93
	v_add_f32_e32 v94, v96, v94
	v_fma_f32 v96, 0xbf59a7d5, v100, -v90
	v_add_f32_e32 v92, v92, v95
	v_mul_f32_e32 v54, 0xbf06c442, v54
	v_add_f32_e32 v89, v91, v89
	v_add_f32_e32 v91, v93, v97
	v_sub_f32_e32 v95, v45, v51
	v_sub_f32_e32 v97, v44, v50
	v_add_f32_e32 v93, v96, v99
	v_fmamk_f32 v96, v53, 0xbf59a7d5, v54
	v_fmac_f32_e32 v90, 0xbf59a7d5, v100
	v_add_f32_e32 v44, v50, v44
	v_mul_f32_e32 v50, 0xbf7ee86f, v95
	v_fma_f32 v53, 0xbf59a7d5, v53, -v54
	v_add_f32_e32 v45, v51, v45
	v_mul_f32_e32 v51, 0xbf7ee86f, v97
	v_add_f32_e32 v54, v96, v74
	v_fma_f32 v74, 0x3dbcf732, v44, -v50
	v_add_f32_e32 v60, v90, v60
	v_add_f32_e32 v52, v53, v52
	v_fmamk_f32 v53, v45, 0x3dbcf732, v51
	v_mul_f32_e32 v90, 0xbe3c28d5, v95
	v_fma_f32 v51, 0x3dbcf732, v45, -v51
	v_add_f32_e32 v57, v74, v57
	v_fmac_f32_e32 v50, 0x3dbcf732, v44
	v_add_f32_e32 v53, v53, v61
	v_fma_f32 v61, 0xbf7ba420, v44, -v90
	v_mul_f32_e32 v74, 0xbe3c28d5, v97
	v_add_f32_e32 v51, v51, v55
	v_mul_f32_e32 v55, 0x3f763a35, v95
	v_add_f32_e32 v50, v50, v56
	v_add_f32_e32 v56, v61, v59
	v_fmamk_f32 v59, v45, 0xbf7ba420, v74
	v_fma_f32 v61, 0xbf7ba420, v45, -v74
	v_fma_f32 v74, 0xbe8c1d8e, v44, -v55
	v_mul_f32_e32 v96, 0x3f763a35, v97
	v_fmac_f32_e32 v90, 0xbf7ba420, v44
	v_add_f32_e32 v59, v59, v70
	v_add_f32_e32 v61, v61, v73
	;; [unrolled: 1-line block ×3, first 2 shown]
	v_fmamk_f32 v72, v45, 0xbe8c1d8e, v96
	v_mul_f32_e32 v73, 0x3eb8f4ab, v95
	v_add_f32_e32 v58, v90, v58
	v_fmac_f32_e32 v55, 0xbe8c1d8e, v44
	v_fma_f32 v74, 0xbe8c1d8e, v45, -v96
	v_mul_f32_e32 v90, 0x3eb8f4ab, v97
	v_add_f32_e32 v72, v72, v75
	v_fma_f32 v75, 0x3f6eb680, v44, -v73
	v_add_f32_e32 v55, v55, v71
	v_add_f32_e32 v71, v74, v78
	v_fmamk_f32 v74, v45, 0x3f6eb680, v90
	v_mul_f32_e32 v78, 0xbf65296c, v95
	v_add_f32_e32 v75, v75, v87
	v_fmac_f32_e32 v73, 0x3f6eb680, v44
	v_fma_f32 v87, 0x3f6eb680, v45, -v90
	v_add_f32_e32 v74, v74, v86
	v_fma_f32 v86, 0x3ee437d1, v44, -v78
	v_mul_f32_e32 v90, 0xbf65296c, v97
	v_add_f32_e32 v67, v73, v67
	v_add_f32_e32 v73, v87, v76
	v_mul_f32_e32 v76, 0xbf06c442, v95
	v_add_f32_e32 v77, v86, v77
	v_fmamk_f32 v86, v45, 0x3ee437d1, v90
	v_fmac_f32_e32 v78, 0x3ee437d1, v44
	v_fma_f32 v87, 0x3ee437d1, v45, -v90
	v_fma_f32 v90, 0xbf59a7d5, v44, -v76
	v_mul_f32_e32 v96, 0xbf06c442, v97
	v_add_f32_e32 v80, v86, v80
	v_add_f32_e32 v78, v78, v79
	;; [unrolled: 1-line block ×4, first 2 shown]
	v_fmamk_f32 v86, v45, 0xbf59a7d5, v96
	v_mul_f32_e32 v87, 0x3f4c4adb, v95
	v_fmac_f32_e32 v76, 0xbf59a7d5, v44
	v_mul_f32_e32 v88, 0x3f4c4adb, v97
	v_fma_f32 v90, 0xbf59a7d5, v45, -v96
	v_add_f32_e32 v82, v86, v82
	v_fma_f32 v86, 0xbf1a4643, v44, -v87
	v_add_f32_e32 v76, v76, v81
	v_fmamk_f32 v81, v45, 0xbf1a4643, v88
	v_add_f32_e32 v83, v90, v83
	v_mul_f32_e32 v90, 0x3f2c7751, v95
	v_fmac_f32_e32 v87, 0xbf1a4643, v44
	v_fma_f32 v88, 0xbf1a4643, v45, -v88
	v_add_f32_e32 v81, v81, v92
	v_add_f32_e32 v86, v86, v94
	v_fma_f32 v92, 0x3f3d2fb0, v44, -v90
	v_add_f32_e32 v87, v87, v89
	v_sub_f32_e32 v89, v47, v49
	v_mul_f32_e32 v94, 0x3f2c7751, v97
	v_add_f32_e32 v88, v88, v91
	v_add_f32_e32 v91, v92, v93
	;; [unrolled: 1-line block ×3, first 2 shown]
	v_mul_f32_e32 v95, 0xbf763a35, v89
	v_sub_f32_e32 v46, v46, v48
	v_fmamk_f32 v92, v45, 0x3f3d2fb0, v94
	v_fmac_f32_e32 v90, 0x3f3d2fb0, v44
	v_fma_f32 v44, 0x3f3d2fb0, v45, -v94
	v_add_f32_e32 v45, v49, v47
	v_fma_f32 v47, 0xbe8c1d8e, v93, -v95
	v_mul_f32_e32 v48, 0xbf763a35, v46
	v_add_f32_e32 v49, v92, v54
	v_add_f32_e32 v44, v44, v52
	;; [unrolled: 1-line block ×4, first 2 shown]
	v_fmamk_f32 v52, v45, 0xbe8c1d8e, v48
	v_mul_f32_e32 v57, 0x3f06c442, v89
	v_fma_f32 v48, 0xbe8c1d8e, v45, -v48
	v_mul_f32_e32 v60, 0x3f06c442, v46
	v_mul_f32_e32 v90, 0x3f2c7751, v89
	v_add_f32_e32 v52, v52, v53
	v_fma_f32 v53, 0xbf59a7d5, v93, -v57
	v_add_f32_e32 v48, v48, v51
	v_fmamk_f32 v51, v45, 0xbf59a7d5, v60
	v_fmac_f32_e32 v57, 0xbf59a7d5, v93
	v_mul_f32_e32 v92, 0xbf65296c, v46
	v_add_f32_e32 v53, v53, v56
	v_fma_f32 v56, 0xbf59a7d5, v45, -v60
	v_mul_f32_e32 v60, 0x3f2c7751, v46
	v_add_f32_e32 v51, v51, v59
	v_fma_f32 v59, 0x3f3d2fb0, v93, -v90
	v_add_f32_e32 v57, v57, v58
	v_add_f32_e32 v56, v56, v61
	v_mul_f32_e32 v58, 0xbf65296c, v89
	v_fmamk_f32 v61, v45, 0x3f3d2fb0, v60
	v_fma_f32 v60, 0x3f3d2fb0, v45, -v60
	v_add_f32_e32 v59, v59, v70
	v_fmac_f32_e32 v90, 0x3f3d2fb0, v93
	v_fma_f32 v70, 0x3ee437d1, v93, -v58
	v_add_f32_e32 v61, v61, v72
	v_add_f32_e32 v60, v60, v71
	v_fmamk_f32 v71, v45, 0x3ee437d1, v92
	v_mul_f32_e32 v72, 0xbe3c28d5, v89
	v_add_f32_e32 v55, v90, v55
	v_add_f32_e32 v70, v70, v75
	v_fmac_f32_e32 v58, 0x3ee437d1, v93
	v_fma_f32 v75, 0x3ee437d1, v45, -v92
	v_mul_f32_e32 v90, 0xbe3c28d5, v46
	v_add_f32_e32 v71, v71, v74
	v_fma_f32 v74, 0xbf7ba420, v93, -v72
	v_add_f32_e32 v58, v58, v67
	v_add_f32_e32 v67, v75, v73
	v_fmamk_f32 v73, v45, 0xbf7ba420, v90
	v_mul_f32_e32 v75, 0x3f7ee86f, v89
	v_add_f32_e32 v74, v74, v77
	v_fma_f32 v77, 0xbf7ba420, v45, -v90
	v_fmac_f32_e32 v72, 0xbf7ba420, v93
	v_add_f32_e32 v73, v73, v80
	v_fma_f32 v80, 0x3dbcf732, v93, -v75
	v_mul_f32_e32 v90, 0x3f7ee86f, v46
	v_add_f32_e32 v66, v77, v66
	v_mul_f32_e32 v77, 0xbeb8f4ab, v89
	v_add_f32_e32 v72, v72, v78
	v_add_f32_e32 v78, v80, v79
	v_fmamk_f32 v79, v45, 0x3dbcf732, v90
	v_fmac_f32_e32 v75, 0x3dbcf732, v93
	v_fma_f32 v80, 0x3dbcf732, v45, -v90
	v_fma_f32 v90, 0x3f6eb680, v93, -v77
	v_mul_f32_e32 v92, 0xbeb8f4ab, v46
	v_fmac_f32_e32 v77, 0x3f6eb680, v93
	v_add_f32_e32 v75, v75, v76
	v_add_f32_e32 v76, v80, v83
	;; [unrolled: 1-line block ×3, first 2 shown]
	v_fma_f32 v86, 0x3f6eb680, v45, -v92
	v_add_f32_e32 v79, v79, v82
	v_fmamk_f32 v82, v45, 0x3f6eb680, v92
	v_mul_f32_e32 v83, 0xbf4c4adb, v89
	v_mul_f32_e32 v46, 0xbf4c4adb, v46
	v_add_f32_e32 v77, v77, v87
	v_add_f32_e32 v86, v86, v88
	v_sub_f32_e32 v87, v37, v43
	v_add_f32_e32 v88, v42, v36
	v_sub_f32_e32 v36, v36, v42
	v_add_f32_e32 v81, v82, v81
	v_fma_f32 v82, 0xbf1a4643, v93, -v83
	v_fmamk_f32 v89, v45, 0xbf1a4643, v46
	v_mul_f32_e32 v42, 0xbf4c4adb, v87
	v_fmac_f32_e32 v83, 0xbf1a4643, v93
	v_fma_f32 v45, 0xbf1a4643, v45, -v46
	v_add_f32_e32 v37, v43, v37
	v_mul_f32_e32 v43, 0xbf4c4adb, v36
	v_fmac_f32_e32 v95, 0xbe8c1d8e, v93
	v_fma_f32 v46, 0xbf1a4643, v88, -v42
	v_add_f32_e32 v54, v83, v54
	v_add_f32_e32 v44, v45, v44
	v_mul_f32_e32 v45, 0x3f763a35, v87
	v_fmamk_f32 v83, v37, 0xbf1a4643, v43
	v_add_f32_e32 v50, v95, v50
	v_add_f32_e32 v46, v46, v47
	v_fmac_f32_e32 v42, 0xbf1a4643, v88
	v_fma_f32 v43, 0xbf1a4643, v37, -v43
	v_fma_f32 v47, 0xbe8c1d8e, v88, -v45
	v_add_f32_e32 v52, v83, v52
	v_mul_f32_e32 v83, 0x3f763a35, v36
	v_add_f32_e32 v42, v42, v50
	v_add_f32_e32 v43, v43, v48
	;; [unrolled: 1-line block ×3, first 2 shown]
	v_mul_f32_e32 v48, 0xbeb8f4ab, v87
	v_fmamk_f32 v50, v37, 0xbe8c1d8e, v83
	v_fma_f32 v53, 0xbe8c1d8e, v37, -v83
	v_mul_f32_e32 v83, 0xbeb8f4ab, v36
	v_add_f32_e32 v49, v89, v49
	v_fmac_f32_e32 v45, 0xbe8c1d8e, v88
	v_fma_f32 v89, 0x3f6eb680, v88, -v48
	v_add_f32_e32 v50, v50, v51
	v_add_f32_e32 v51, v53, v56
	v_fmamk_f32 v53, v37, 0x3f6eb680, v83
	v_add_f32_e32 v45, v45, v57
	v_add_f32_e32 v56, v89, v59
	v_mul_f32_e32 v57, 0xbf06c442, v87
	v_fmac_f32_e32 v48, 0x3f6eb680, v88
	v_fma_f32 v59, 0x3f6eb680, v37, -v83
	v_add_f32_e32 v53, v53, v61
	v_mul_f32_e32 v61, 0xbf06c442, v36
	v_fma_f32 v83, 0xbf59a7d5, v88, -v57
	v_add_f32_e32 v48, v48, v55
	v_add_f32_e32 v55, v59, v60
	v_mul_f32_e32 v59, 0x3f7ee86f, v87
	v_fmamk_f32 v60, v37, 0xbf59a7d5, v61
	v_fmac_f32_e32 v57, 0xbf59a7d5, v88
	v_fma_f32 v61, 0xbf59a7d5, v37, -v61
	v_add_f32_e32 v70, v83, v70
	v_fma_f32 v83, 0x3dbcf732, v88, -v59
	v_add_f32_e32 v60, v60, v71
	v_mul_f32_e32 v71, 0x3f7ee86f, v36
	v_add_f32_e32 v57, v57, v58
	v_add_f32_e32 v58, v61, v67
	v_mul_f32_e32 v67, 0xbf2c7751, v87
	v_add_f32_e32 v61, v83, v74
	v_fmamk_f32 v74, v37, 0x3dbcf732, v71
	v_fmac_f32_e32 v59, 0x3dbcf732, v88
	v_fma_f32 v71, 0x3dbcf732, v37, -v71
	v_mul_f32_e32 v83, 0xbf2c7751, v36
	v_fma_f32 v89, 0x3f3d2fb0, v88, -v67
	v_add_f32_e32 v73, v74, v73
	v_add_f32_e32 v59, v59, v72
	;; [unrolled: 1-line block ×3, first 2 shown]
	v_fmamk_f32 v71, v37, 0x3f3d2fb0, v83
	v_add_f32_e32 v72, v89, v78
	v_mul_f32_e32 v74, 0xbe3c28d5, v87
	v_fmac_f32_e32 v67, 0x3f3d2fb0, v88
	v_fma_f32 v78, 0x3f3d2fb0, v37, -v83
	v_add_f32_e32 v71, v71, v79
	v_mul_f32_e32 v79, 0xbe3c28d5, v36
	v_fma_f32 v83, 0xbf7ba420, v88, -v74
	v_add_f32_e32 v67, v67, v75
	v_add_f32_e32 v75, v78, v76
	v_mul_f32_e32 v76, 0x3f65296c, v87
	v_add_f32_e32 v82, v82, v91
	v_fmamk_f32 v78, v37, 0xbf7ba420, v79
	v_add_f32_e32 v80, v83, v80
	v_fmac_f32_e32 v74, 0xbf7ba420, v88
	v_fma_f32 v79, 0xbf7ba420, v37, -v79
	v_fma_f32 v83, 0x3ee437d1, v88, -v76
	v_add_f32_e32 v78, v78, v81
	v_mul_f32_e32 v36, 0x3f65296c, v36
	v_add_f32_e32 v74, v74, v77
	v_add_f32_e32 v77, v79, v86
	;; [unrolled: 1-line block ×3, first 2 shown]
	v_sub_f32_e32 v81, v39, v41
	v_sub_f32_e32 v83, v38, v40
	v_fmamk_f32 v82, v37, 0x3ee437d1, v36
	v_fmac_f32_e32 v76, 0x3ee437d1, v88
	v_add_f32_e32 v38, v40, v38
	v_mul_f32_e32 v40, 0xbf06c442, v81
	v_fma_f32 v36, 0x3ee437d1, v37, -v36
	v_add_f32_e32 v37, v41, v39
	v_mul_f32_e32 v39, 0xbf06c442, v83
	v_add_f32_e32 v41, v82, v49
	v_fma_f32 v49, 0xbf59a7d5, v38, -v40
	v_add_f32_e32 v54, v76, v54
	v_add_f32_e32 v36, v36, v44
	v_fmamk_f32 v44, v37, 0xbf59a7d5, v39
	v_mul_f32_e32 v76, 0x3f65296c, v81
	v_fmac_f32_e32 v40, 0xbf59a7d5, v38
	v_add_f32_e32 v46, v49, v46
	v_fma_f32 v39, 0xbf59a7d5, v37, -v39
	v_add_f32_e32 v44, v44, v52
	v_fma_f32 v49, 0x3ee437d1, v38, -v76
	v_mul_f32_e32 v52, 0x3f65296c, v83
	v_add_f32_e32 v40, v40, v42
	v_mul_f32_e32 v42, 0xbf7ee86f, v81
	v_add_f32_e32 v39, v39, v43
	v_add_f32_e32 v43, v49, v47
	v_fmamk_f32 v47, v37, 0x3ee437d1, v52
	v_fmac_f32_e32 v76, 0x3ee437d1, v38
	v_fma_f32 v49, 0x3ee437d1, v37, -v52
	v_fma_f32 v52, 0x3dbcf732, v38, -v42
	v_mul_f32_e32 v82, 0xbf7ee86f, v83
	v_add_f32_e32 v47, v47, v50
	v_add_f32_e32 v45, v76, v45
	;; [unrolled: 1-line block ×4, first 2 shown]
	v_fmamk_f32 v51, v37, 0x3dbcf732, v82
	v_mul_f32_e32 v52, 0x3f4c4adb, v81
	v_fmac_f32_e32 v42, 0x3dbcf732, v38
	v_fma_f32 v56, 0x3dbcf732, v37, -v82
	v_mul_f32_e32 v76, 0x3f4c4adb, v83
	v_add_f32_e32 v51, v51, v53
	v_fma_f32 v53, 0xbf1a4643, v38, -v52
	v_add_f32_e32 v42, v42, v48
	v_add_f32_e32 v48, v56, v55
	v_fmamk_f32 v55, v37, 0xbf1a4643, v76
	v_mul_f32_e32 v56, 0xbeb8f4ab, v81
	v_fmac_f32_e32 v52, 0xbf1a4643, v38
	v_add_f32_e32 v53, v53, v70
	v_fma_f32 v70, 0xbf1a4643, v37, -v76
	v_add_f32_e32 v55, v55, v60
	v_fma_f32 v60, 0x3f6eb680, v38, -v56
	v_mul_f32_e32 v76, 0xbeb8f4ab, v83
	v_add_f32_e32 v57, v52, v57
	v_mul_f32_e32 v52, 0xbe3c28d5, v81
	v_add_f32_e32 v58, v70, v58
	v_add_f32_e32 v60, v60, v61
	v_fmamk_f32 v61, v37, 0x3f6eb680, v76
	v_fmac_f32_e32 v56, 0x3f6eb680, v38
	v_fma_f32 v70, 0x3f6eb680, v37, -v76
	v_fma_f32 v76, 0xbf7ba420, v38, -v52
	v_mul_f32_e32 v82, 0xbe3c28d5, v83
	v_add_f32_e32 v61, v61, v73
	v_add_f32_e32 v59, v56, v59
	;; [unrolled: 1-line block ×4, first 2 shown]
	v_fmamk_f32 v56, v37, 0xbf7ba420, v82
	v_mul_f32_e32 v72, 0x3f2c7751, v81
	v_fmac_f32_e32 v52, 0xbf7ba420, v38
	v_fma_f32 v73, 0xbf7ba420, v37, -v82
	v_mul_f32_e32 v76, 0x3f2c7751, v83
	v_add_f32_e32 v71, v56, v71
	v_fma_f32 v56, 0x3f3d2fb0, v38, -v72
	v_add_f32_e32 v67, v52, v67
	v_add_f32_e32 v73, v73, v75
	v_fmamk_f32 v52, v37, 0x3f3d2fb0, v76
	v_mul_f32_e32 v75, 0xbf763a35, v81
	v_add_f32_e32 v80, v56, v80
	v_fmac_f32_e32 v72, 0x3f3d2fb0, v38
	v_fma_f32 v56, 0x3f3d2fb0, v37, -v76
	v_add_f32_e32 v76, v52, v78
	v_fma_f32 v52, 0xbe8c1d8e, v38, -v75
	v_mul_f32_e32 v78, 0xbf763a35, v83
	v_add_f32_e32 v72, v72, v74
	v_add_f32_e32 v74, v56, v77
	v_sub_f32_e32 v77, v1, v3
	v_sub_f32_e32 v82, v0, v2
	v_add_f32_e32 v79, v52, v79
	v_fmamk_f32 v52, v37, 0xbe8c1d8e, v78
	v_add_f32_e32 v81, v2, v0
	v_mul_f32_e32 v2, 0xbe3c28d5, v77
	v_fma_f32 v0, 0xbe8c1d8e, v37, -v78
	v_add_f32_e32 v78, v3, v1
	v_mul_f32_e32 v1, 0xbe3c28d5, v82
	v_fmac_f32_e32 v75, 0xbe8c1d8e, v38
	v_fma_f32 v3, 0xbf7ba420, v81, -v2
	v_add_f32_e32 v86, v0, v36
	v_mul_f32_e32 v38, 0x3eb8f4ab, v77
	v_fmamk_f32 v36, v78, 0xbf7ba420, v1
	v_fmac_f32_e32 v2, 0xbf7ba420, v81
	v_add_f32_e32 v83, v52, v41
	v_add_f32_e32 v0, v3, v46
	v_fma_f32 v3, 0xbf7ba420, v78, -v1
	v_add_f32_e32 v1, v36, v44
	v_mul_f32_e32 v41, 0x3eb8f4ab, v82
	v_fma_f32 v44, 0x3f6eb680, v81, -v38
	v_add_f32_e32 v36, v2, v40
	v_mul_f32_e32 v40, 0xbf06c442, v77
	v_add_f32_e32 v37, v3, v39
	v_fmamk_f32 v3, v78, 0x3f6eb680, v41
	v_add_f32_e32 v2, v44, v43
	v_fmac_f32_e32 v38, 0x3f6eb680, v81
	v_fma_f32 v39, 0x3f6eb680, v78, -v41
	v_fma_f32 v41, 0xbf59a7d5, v81, -v40
	v_mul_f32_e32 v43, 0xbf06c442, v82
	v_mul_f32_e32 v44, 0x3f2c7751, v77
	v_add_f32_e32 v38, v38, v45
	v_fmac_f32_e32 v40, 0xbf59a7d5, v81
	v_add_f32_e32 v50, v41, v50
	v_fmamk_f32 v41, v78, 0xbf59a7d5, v43
	v_fma_f32 v43, 0xbf59a7d5, v78, -v43
	v_mul_f32_e32 v45, 0x3f2c7751, v82
	v_fma_f32 v46, 0x3f3d2fb0, v81, -v44
	v_add_f32_e32 v40, v40, v42
	v_add_f32_e32 v51, v41, v51
	;; [unrolled: 1-line block ×3, first 2 shown]
	v_fmamk_f32 v42, v78, 0x3f3d2fb0, v45
	v_add_f32_e32 v52, v46, v53
	v_mul_f32_e32 v46, 0xbf4c4adb, v77
	v_fmac_f32_e32 v44, 0x3f3d2fb0, v81
	v_fma_f32 v43, 0x3f3d2fb0, v78, -v45
	v_mul_f32_e32 v45, 0xbf4c4adb, v82
	v_add_f32_e32 v3, v3, v47
	v_add_f32_e32 v39, v39, v49
	;; [unrolled: 1-line block ×3, first 2 shown]
	v_fma_f32 v47, 0xbf1a4643, v81, -v46
	v_add_f32_e32 v42, v44, v57
	v_mul_f32_e32 v48, 0x3f65296c, v77
	v_fmamk_f32 v44, v78, 0xbf1a4643, v45
	v_fmac_f32_e32 v46, 0xbf1a4643, v81
	v_mul_f32_e32 v49, 0x3f65296c, v82
	v_add_f32_e32 v43, v43, v58
	v_add_f32_e32 v56, v47, v60
	v_fma_f32 v45, 0xbf1a4643, v78, -v45
	v_fma_f32 v47, 0x3ee437d1, v81, -v48
	v_add_f32_e32 v57, v44, v61
	v_add_f32_e32 v44, v46, v59
	v_mul_f32_e32 v58, 0xbf763a35, v77
	v_fmamk_f32 v46, v78, 0x3ee437d1, v49
	v_fmac_f32_e32 v48, 0x3ee437d1, v81
	v_add_f32_e32 v75, v75, v54
	v_add_f32_e32 v45, v45, v66
	;; [unrolled: 1-line block ×3, first 2 shown]
	v_fma_f32 v47, 0x3ee437d1, v78, -v49
	v_mul_f32_e32 v49, 0xbf763a35, v82
	v_fma_f32 v59, 0xbe8c1d8e, v81, -v58
	v_add_f32_e32 v55, v46, v71
	v_add_f32_e32 v46, v48, v67
	v_mul_f32_e32 v66, 0x3f7ee86f, v77
	v_mul_f32_e32 v67, 0x3f7ee86f, v82
	v_sub_f32_e32 v168, v11, v65
	v_sub_f32_e32 v167, v10, v64
	v_fmamk_f32 v48, v78, 0xbe8c1d8e, v49
	v_add_f32_e32 v60, v59, v80
	v_fmac_f32_e32 v58, 0xbe8c1d8e, v81
	v_fma_f32 v59, 0x3dbcf732, v81, -v66
	v_fmamk_f32 v70, v78, 0x3dbcf732, v67
	v_add_f32_e32 v90, v64, v10
	v_mul_f32_e32 v89, 0xbeb8f4ab, v168
	v_add_f32_e32 v92, v65, v11
	v_mul_f32_e32 v91, 0xbeb8f4ab, v167
	v_add_f32_e32 v61, v48, v76
	v_add_f32_e32 v48, v58, v72
	v_fmac_f32_e32 v66, 0x3dbcf732, v81
	v_add_f32_e32 v58, v59, v79
	v_add_f32_e32 v59, v70, v83
	v_mul_f32_e32 v94, 0xbf2c7751, v168
	v_fmamk_f32 v70, v90, 0x3f6eb680, v89
	v_mul_f32_e32 v95, 0xbf2c7751, v167
	v_fma_f32 v71, 0x3f6eb680, v92, -v91
	v_mul_f32_e32 v96, 0xbf65296c, v168
	v_add_f32_e32 v66, v66, v75
	v_fmamk_f32 v72, v90, 0x3f3d2fb0, v94
	v_add_f32_e32 v75, v70, v8
	v_fma_f32 v70, 0x3f3d2fb0, v92, -v95
	v_add_f32_e32 v76, v71, v9
	v_fmamk_f32 v71, v90, 0x3ee437d1, v96
	v_mul_f32_e32 v98, 0xbf65296c, v167
	v_mul_f32_e32 v100, 0xbf7ee86f, v168
	v_sub_f32_e32 v170, v33, v7
	v_add_f32_e32 v47, v47, v73
	v_fma_f32 v49, 0xbe8c1d8e, v78, -v49
	v_fma_f32 v67, 0x3dbcf732, v78, -v67
	v_add_f32_e32 v77, v72, v8
	v_add_f32_e32 v78, v70, v9
	;; [unrolled: 1-line block ×3, first 2 shown]
	v_fma_f32 v72, 0x3ee437d1, v92, -v98
	v_mul_f32_e32 v108, 0xbf7ee86f, v167
	v_fmamk_f32 v73, v90, 0x3dbcf732, v100
	v_add_f32_e32 v71, v6, v32
	v_mul_f32_e32 v70, 0xbf2c7751, v170
	v_sub_f32_e32 v169, v32, v6
	v_add_f32_e32 v49, v49, v74
	v_add_f32_e32 v82, v72, v9
	;; [unrolled: 1-line block ×3, first 2 shown]
	v_fma_f32 v80, 0x3dbcf732, v92, -v108
	v_fmamk_f32 v81, v71, 0x3f3d2fb0, v70
	v_add_f32_e32 v73, v7, v33
	v_mul_f32_e32 v72, 0xbf2c7751, v169
	v_mul_f32_e32 v74, 0xbf7ee86f, v170
	v_add_f32_e32 v67, v67, v86
	v_add_f32_e32 v86, v80, v9
	;; [unrolled: 1-line block ×3, first 2 shown]
	v_mul_f32_e32 v75, 0xbf7ee86f, v169
	v_fma_f32 v80, 0x3f3d2fb0, v73, -v72
	v_fmamk_f32 v81, v71, 0x3dbcf732, v74
	v_mul_f32_e32 v97, 0xbf4c4adb, v170
	v_mul_f32_e32 v99, 0xbf4c4adb, v169
	v_fma_f32 v88, 0x3dbcf732, v73, -v75
	v_add_f32_e32 v93, v80, v76
	v_add_f32_e32 v101, v81, v77
	v_fmamk_f32 v76, v71, 0xbf1a4643, v97
	v_fma_f32 v77, 0xbf1a4643, v73, -v99
	v_mul_f32_e32 v80, 0xbe3c28d5, v170
	v_mul_f32_e32 v81, 0xbe3c28d5, v169
	v_sub_f32_e32 v172, v35, v5
	v_add_f32_e32 v88, v88, v78
	v_add_f32_e32 v102, v76, v79
	;; [unrolled: 1-line block ×3, first 2 shown]
	v_fmamk_f32 v78, v71, 0xbf7ba420, v80
	v_fma_f32 v79, 0xbf7ba420, v73, -v81
	v_add_f32_e32 v77, v4, v34
	v_sub_f32_e32 v171, v34, v4
	v_mul_f32_e32 v76, 0xbf65296c, v172
	v_mul_f32_e32 v110, 0x3e3c28d5, v172
	v_add_f32_e32 v104, v78, v83
	v_add_f32_e32 v105, v79, v86
	;; [unrolled: 1-line block ×3, first 2 shown]
	v_fmamk_f32 v86, v77, 0x3ee437d1, v76
	v_mul_f32_e32 v82, 0xbf4c4adb, v172
	v_mul_f32_e32 v83, 0xbf4c4adb, v171
	v_fmamk_f32 v107, v77, 0xbf7ba420, v110
	v_mul_f32_e32 v78, 0xbf65296c, v171
	v_add_f32_e32 v111, v86, v87
	v_fmamk_f32 v86, v77, 0xbf1a4643, v82
	v_fma_f32 v87, 0xbf1a4643, v79, -v83
	v_mul_f32_e32 v157, 0x3e3c28d5, v171
	v_add_f32_e32 v102, v107, v102
	v_sub_f32_e32 v184, v29, v15
	v_mul_f32_e32 v107, 0x3f763a35, v172
	v_fma_f32 v106, 0x3ee437d1, v79, -v78
	v_add_f32_e32 v151, v86, v101
	v_add_f32_e32 v152, v87, v88
	v_fma_f32 v88, 0xbf7ba420, v79, -v157
	v_mul_f32_e32 v109, 0x3f763a35, v171
	v_add_f32_e32 v87, v14, v28
	v_mul_f32_e32 v86, 0xbf7ee86f, v184
	v_sub_f32_e32 v231, v28, v14
	v_fmamk_f32 v101, v77, 0xbe8c1d8e, v107
	v_add_f32_e32 v106, v106, v93
	v_add_f32_e32 v153, v88, v103
	v_fma_f32 v103, 0xbe8c1d8e, v79, -v109
	v_fmamk_f32 v154, v87, 0x3dbcf732, v86
	v_add_f32_e32 v93, v15, v29
	v_mul_f32_e32 v88, 0xbf7ee86f, v231
	v_add_f32_e32 v155, v101, v104
	v_mul_f32_e32 v101, 0xbe3c28d5, v184
	v_add_f32_e32 v156, v103, v105
	v_add_f32_e32 v154, v154, v111
	v_fma_f32 v104, 0x3dbcf732, v93, -v88
	v_mul_f32_e32 v165, 0x3f763a35, v184
	v_fmamk_f32 v105, v87, 0xbf7ba420, v101
	v_mul_f32_e32 v111, 0x3eb8f4ab, v184
	v_mul_f32_e32 v164, 0x3eb8f4ab, v231
	v_add_f32_e32 v159, v104, v106
	v_fmamk_f32 v106, v87, 0xbe8c1d8e, v165
	v_add_f32_e32 v151, v105, v151
	v_fmamk_f32 v105, v87, 0x3f6eb680, v111
	v_sub_f32_e32 v234, v30, v12
	v_mul_f32_e32 v103, 0xbe3c28d5, v231
	v_add_f32_e32 v160, v106, v102
	v_fma_f32 v161, 0x3f6eb680, v93, -v164
	v_add_f32_e32 v155, v105, v155
	v_add_f32_e32 v106, v13, v31
	v_mul_f32_e32 v105, 0xbf763a35, v234
	v_mul_f32_e32 v166, 0x3f763a35, v231
	v_fma_f32 v104, 0xbf7ba420, v93, -v103
	v_sub_f32_e32 v233, v31, v13
	v_add_f32_e32 v156, v161, v156
	v_fma_f32 v161, 0xbe8c1d8e, v106, -v105
	v_mul_lo_u16 v173, v143, 17
	v_fma_f32 v158, 0xbe8c1d8e, v93, -v166
	v_add_f32_e32 v152, v104, v152
	v_add_f32_e32 v104, v12, v30
	v_mul_f32_e32 v102, 0xbf763a35, v233
	v_add_f32_e32 v159, v161, v159
	v_and_b32_e32 v161, 0xffff, v173
	v_add_f32_e32 v153, v158, v153
	v_mul_f32_e32 v158, 0x3f06c442, v233
	v_fmamk_f32 v162, v104, 0xbe8c1d8e, v102
	v_mul_f32_e32 v163, 0x3f06c442, v234
	v_lshl_add_u32 v191, v161, 3, v116
	v_sub_f32_e32 v236, v25, v19
	v_mul_f32_e32 v185, 0x3f2c7751, v233
	v_add_f32_e32 v154, v162, v154
	v_fmamk_f32 v162, v104, 0xbf59a7d5, v158
	v_fma_f32 v174, 0xbf59a7d5, v106, -v163
	v_sub_f32_e32 v235, v24, v18
	s_barrier
	buffer_gl0_inv
	ds_write2_b64 v191, v[62:63], v[0:1] offset1:1
	v_add_f32_e32 v63, v18, v24
	v_mul_f32_e32 v175, 0x3f763a35, v236
	v_add_f32_e32 v151, v162, v151
	v_add_f32_e32 v152, v174, v152
	v_mul_f32_e32 v186, 0x3f2c7751, v234
	v_fmamk_f32 v162, v104, 0x3f3d2fb0, v185
	v_add_f32_e32 v174, v19, v25
	v_mul_f32_e32 v62, 0xbf4c4adb, v236
	v_mul_f32_e32 v173, 0xbf4c4adb, v235
	ds_write2_b64 v191, v[2:3], v[50:51] offset0:2 offset1:3
	v_fmamk_f32 v50, v63, 0xbe8c1d8e, v175
	v_mul_f32_e32 v187, 0xbeb8f4ab, v236
	v_sub_f32_e32 v237, v27, v17
	v_sub_f32_e32 v238, v26, v16
	v_fma_f32 v0, 0x3f3d2fb0, v106, -v186
	v_add_f32_e32 v1, v162, v160
	v_fmamk_f32 v2, v63, 0xbf1a4643, v62
	v_fma_f32 v3, 0xbf1a4643, v174, -v173
	v_mul_f32_e32 v176, 0x3f763a35, v235
	v_add_f32_e32 v151, v50, v151
	v_mul_f32_e32 v188, 0xbeb8f4ab, v235
	ds_write2_b64 v191, v[52:53], v[56:57] offset0:4 offset1:5
	v_fmamk_f32 v56, v63, 0x3f6eb680, v187
	v_add_f32_e32 v51, v16, v26
	v_mul_f32_e32 v50, 0xbf06c442, v237
	v_add_f32_e32 v53, v17, v27
	v_mul_f32_e32 v52, 0xbf06c442, v238
	v_add_f32_e32 v0, v0, v153
	v_add_f32_e32 v2, v2, v154
	;; [unrolled: 1-line block ×3, first 2 shown]
	v_fma_f32 v153, 0xbe8c1d8e, v174, -v176
	ds_write2_b64 v191, v[54:55], v[60:61] offset0:6 offset1:7
	v_fma_f32 v54, 0x3f6eb680, v174, -v188
	v_fmamk_f32 v55, v51, 0xbf59a7d5, v50
	v_add_f32_e32 v1, v56, v1
	v_fma_f32 v56, 0xbf59a7d5, v53, -v52
	v_mul_f32_e32 v60, 0x3f65296c, v237
	v_mul_f32_e32 v61, 0x3f65296c, v238
	v_sub_f32_e32 v239, v21, v23
	v_sub_f32_e32 v240, v20, v22
	v_add_f32_e32 v57, v153, v152
	v_add_f32_e32 v0, v54, v0
	;; [unrolled: 1-line block ×4, first 2 shown]
	v_fmamk_f32 v152, v51, 0x3ee437d1, v60
	ds_write2_b64 v191, v[58:59], v[66:67] offset0:8 offset1:9
	v_fma_f32 v59, 0x3ee437d1, v53, -v61
	v_add_f32_e32 v54, v22, v20
	v_mul_f32_e32 v55, 0xbe3c28d5, v239
	v_add_f32_e32 v58, v23, v21
	v_mul_f32_e32 v56, 0xbe3c28d5, v240
	v_mul_f32_e32 v195, 0xbf7ee86f, v237
	v_add_f32_e32 v67, v152, v151
	v_fmamk_f32 v66, v54, 0xbf7ba420, v55
	v_add_f32_e32 v151, v59, v57
	v_fma_f32 v152, 0xbf7ba420, v58, -v56
	v_mul_f32_e32 v196, 0xbf7ee86f, v238
	v_fmamk_f32 v153, v51, 0x3dbcf732, v195
	v_mul_f32_e32 v57, 0x3eb8f4ab, v239
	v_add_f32_e32 v2, v66, v2
	v_mul_f32_e32 v59, 0x3eb8f4ab, v240
	v_add_f32_e32 v3, v152, v3
	v_add_f32_e32 v152, v153, v1
	v_fma_f32 v1, 0x3dbcf732, v53, -v196
	v_fmamk_f32 v153, v54, 0x3f6eb680, v57
	v_mul_f32_e32 v66, 0xbf65296c, v233
	v_fma_f32 v154, 0x3f6eb680, v58, -v59
	v_mul_f32_e32 v192, 0xbf65296c, v234
	v_add_f32_e32 v159, v1, v0
	v_add_f32_e32 v0, v153, v67
	v_fmamk_f32 v67, v104, 0x3ee437d1, v66
	v_mul_f32_e32 v189, 0xbf06c442, v236
	v_mul_f32_e32 v197, 0xbf06c442, v239
	;; [unrolled: 1-line block ×3, first 2 shown]
	v_add_f32_e32 v1, v154, v151
	v_add_f32_e32 v67, v67, v155
	v_fma_f32 v154, 0x3ee437d1, v106, -v192
	v_fmamk_f32 v155, v63, 0xbf59a7d5, v189
	v_mul_f32_e32 v194, 0xbf06c442, v235
	v_mul_f32_e32 v190, 0x3f4c4adb, v237
	v_fmamk_f32 v151, v54, 0xbf59a7d5, v197
	v_fma_f32 v153, 0xbf59a7d5, v58, -v199
	v_add_f32_e32 v154, v154, v156
	v_add_f32_e32 v67, v155, v67
	v_fma_f32 v155, 0xbf59a7d5, v174, -v194
	v_mul_f32_e32 v193, 0x3f4c4adb, v238
	v_fmamk_f32 v156, v51, 0xbf1a4643, v190
	v_mul_f32_e32 v223, 0xbf763a35, v168
	v_add_f32_e32 v151, v151, v152
	v_add_f32_e32 v152, v153, v159
	;; [unrolled: 1-line block ×3, first 2 shown]
	v_fma_f32 v154, 0xbf1a4643, v53, -v193
	v_add_f32_e32 v155, v156, v67
	v_fmamk_f32 v156, v90, 0xbe8c1d8e, v223
	v_mul_f32_e32 v201, 0x3f06c442, v170
	v_mul_f32_e32 v227, 0xbf763a35, v167
	v_add_f32_e32 v154, v154, v153
	v_mul_f32_e32 v67, 0x3f2c7751, v239
	v_add_f32_e32 v153, v156, v8
	v_fmamk_f32 v156, v71, 0xbf59a7d5, v201
	v_fma_f32 v159, 0xbe8c1d8e, v92, -v227
	v_mul_f32_e32 v213, 0x3f06c442, v169
	v_mul_f32_e32 v204, 0x3f2c7751, v172
	v_fmamk_f32 v160, v54, 0x3f3d2fb0, v67
	v_add_f32_e32 v156, v156, v153
	v_add_f32_e32 v159, v159, v9
	v_fma_f32 v161, 0xbf59a7d5, v73, -v213
	v_fmamk_f32 v162, v77, 0x3f3d2fb0, v204
	v_mul_f32_e32 v216, 0x3f2c7751, v171
	v_mul_f32_e32 v206, 0xbf65296c, v184
	v_add_f32_e32 v153, v160, v155
	v_add_f32_e32 v155, v161, v159
	;; [unrolled: 1-line block ×3, first 2 shown]
	v_fma_f32 v159, 0x3f3d2fb0, v79, -v216
	v_fmamk_f32 v160, v87, 0x3ee437d1, v206
	v_mul_f32_e32 v220, 0xbf65296c, v231
	v_mul_f32_e32 v210, 0xbe3c28d5, v233
	;; [unrolled: 1-line block ×3, first 2 shown]
	v_add_f32_e32 v155, v159, v155
	v_add_f32_e32 v156, v160, v156
	v_fma_f32 v159, 0x3ee437d1, v93, -v220
	v_fmamk_f32 v160, v104, 0xbf7ba420, v210
	v_mul_f32_e32 v215, 0x3f7ee86f, v236
	v_mul_f32_e32 v198, 0x3f2c7751, v240
	;; [unrolled: 1-line block ×3, first 2 shown]
	v_add_f32_e32 v155, v159, v155
	v_add_f32_e32 v156, v160, v156
	v_fma_f32 v159, 0xbf7ba420, v106, -v222
	v_fmamk_f32 v160, v63, 0x3dbcf732, v215
	v_mul_f32_e32 v218, 0xbeb8f4ab, v237
	v_fma_f32 v161, 0x3f3d2fb0, v58, -v198
	v_mul_f32_e32 v225, 0xbeb8f4ab, v238
	v_add_f32_e32 v155, v159, v155
	v_fma_f32 v159, 0x3dbcf732, v174, -v224
	v_add_f32_e32 v156, v160, v156
	v_fmamk_f32 v160, v51, 0x3f6eb680, v218
	v_mul_f32_e32 v230, 0xbf4c4adb, v168
	v_mul_f32_e32 v232, 0xbf4c4adb, v167
	v_add_f32_e32 v154, v161, v154
	v_add_f32_e32 v155, v159, v155
	;; [unrolled: 1-line block ×3, first 2 shown]
	v_fma_f32 v159, 0x3f6eb680, v53, -v225
	v_fmamk_f32 v160, v90, 0xbf1a4643, v230
	v_mul_f32_e32 v200, 0x3f763a35, v170
	v_fma_f32 v161, 0xbf1a4643, v92, -v232
	v_mul_f32_e32 v205, 0x3f763a35, v169
	v_add_f32_e32 v159, v159, v155
	v_add_f32_e32 v155, v160, v8
	v_fmamk_f32 v160, v71, 0xbe8c1d8e, v200
	v_add_f32_e32 v161, v161, v9
	v_fma_f32 v162, 0xbe8c1d8e, v73, -v205
	v_mul_f32_e32 v202, 0xbeb8f4ab, v172
	v_mul_f32_e32 v208, 0xbeb8f4ab, v171
	;; [unrolled: 1-line block ×3, first 2 shown]
	v_add_f32_e32 v155, v160, v155
	v_add_f32_e32 v160, v162, v161
	v_fmamk_f32 v161, v77, 0x3f6eb680, v202
	v_fma_f32 v162, 0x3f6eb680, v79, -v208
	v_mul_f32_e32 v203, 0xbf06c442, v184
	v_mul_f32_e32 v214, 0xbf06c442, v231
	v_fmamk_f32 v209, v54, 0xbf1a4643, v228
	v_add_f32_e32 v161, v161, v155
	v_add_f32_e32 v160, v162, v160
	v_fmamk_f32 v162, v87, 0xbf59a7d5, v203
	v_fma_f32 v211, 0xbf59a7d5, v93, -v214
	v_mul_f32_e32 v207, 0x3f7ee86f, v233
	v_mul_f32_e32 v217, 0x3f7ee86f, v234
	v_add_f32_e32 v155, v209, v156
	v_add_f32_e32 v156, v162, v161
	;; [unrolled: 1-line block ×3, first 2 shown]
	v_fmamk_f32 v161, v104, 0x3dbcf732, v207
	v_fma_f32 v162, 0x3dbcf732, v106, -v217
	v_mul_f32_e32 v209, 0xbf2c7751, v236
	v_mul_f32_e32 v219, 0xbf2c7751, v235
	;; [unrolled: 1-line block ×3, first 2 shown]
	v_add_f32_e32 v156, v161, v156
	v_add_f32_e32 v160, v162, v160
	v_fmamk_f32 v161, v63, 0x3f3d2fb0, v209
	v_fma_f32 v162, 0x3f3d2fb0, v174, -v219
	v_mul_f32_e32 v211, 0xbe3c28d5, v237
	v_mul_f32_e32 v221, 0xbe3c28d5, v238
	v_fma_f32 v212, 0xbf1a4643, v58, -v229
	v_add_f32_e32 v161, v161, v156
	v_add_f32_e32 v160, v162, v160
	v_fmamk_f32 v162, v51, 0xbf7ba420, v211
	v_fma_f32 v226, 0xbf7ba420, v53, -v221
	v_mul_f32_e32 v241, 0xbf06c442, v168
	v_add_f32_e32 v156, v212, v159
	v_mul_f32_e32 v159, 0xbf06c442, v167
	v_add_f32_e32 v161, v162, v161
	v_add_f32_e32 v160, v226, v160
	v_fma_f32 v162, 0xbf59a7d5, v90, -v241
	v_mul_f32_e32 v242, 0x3f65296c, v170
	v_fmamk_f32 v226, v92, 0xbf59a7d5, v159
	v_mul_f32_e32 v243, 0x3f65296c, v169
	v_mul_f32_e32 v246, 0xbf7ee86f, v172
	v_add_f32_e32 v162, v162, v8
	v_fma_f32 v244, 0x3ee437d1, v71, -v242
	v_add_f32_e32 v226, v226, v9
	v_fmamk_f32 v245, v73, 0x3ee437d1, v243
	v_mul_f32_e32 v247, 0xbf7ee86f, v171
	v_mul_f32_e32 v212, 0x3f65296c, v239
	v_add_f32_e32 v162, v244, v162
	v_mul_f32_e32 v250, 0x3f4c4adb, v184
	v_add_f32_e32 v244, v245, v226
	v_fma_f32 v245, 0x3dbcf732, v77, -v246
	v_fmamk_f32 v249, v79, 0x3dbcf732, v247
	v_mul_f32_e32 v251, 0x3f4c4adb, v231
	v_fmamk_f32 v248, v54, 0x3ee437d1, v212
	v_mul_f32_e32 v226, 0x3f65296c, v240
	v_add_f32_e32 v162, v245, v162
	v_add_f32_e32 v244, v249, v244
	v_fma_f32 v245, 0xbf1a4643, v87, -v250
	v_fmamk_f32 v249, v93, 0xbf1a4643, v251
	v_mul_f32_e32 v252, 0xbeb8f4ab, v233
	v_mul_f32_e32 v253, 0xbeb8f4ab, v234
	v_fma_f32 v254, 0x3ee437d1, v58, -v226
	v_add_f32_e32 v245, v245, v162
	v_add_f32_e32 v244, v249, v244
	v_fma_f32 v249, 0x3f6eb680, v104, -v252
	v_add_f32_e32 v161, v248, v161
	v_mul_f32_e32 v248, 0xbe3c28d5, v236
	v_fmamk_f32 v255, v106, 0x3f6eb680, v253
	v_add_f32_e32 v162, v254, v160
	v_add_f32_e32 v160, v249, v245
	v_fmac_f32_e32 v241, 0xbf59a7d5, v90
	v_fma_f32 v245, 0xbf7ba420, v63, -v248
	v_fma_f32 v159, 0xbf59a7d5, v92, -v159
	v_mul_f32_e32 v249, 0xbe3c28d5, v235
	v_add_f32_e32 v244, v255, v244
	v_add_f32_e32 v241, v241, v8
	v_fmac_f32_e32 v242, 0x3ee437d1, v71
	v_add_f32_e32 v159, v159, v9
	v_fma_f32 v243, 0x3ee437d1, v73, -v243
	v_add_f32_e32 v160, v245, v160
	v_fmamk_f32 v245, v174, 0xbf7ba420, v249
	v_mul_f32_e32 v254, 0x3f2c7751, v237
	v_add_f32_e32 v241, v242, v241
	v_add_f32_e32 v159, v243, v159
	v_fmac_f32_e32 v246, 0x3dbcf732, v77
	v_fma_f32 v242, 0x3dbcf732, v79, -v247
	v_add_f32_e32 v243, v245, v244
	v_mul_f32_e32 v244, 0x3f2c7751, v238
	v_fma_f32 v255, 0x3f3d2fb0, v51, -v254
	v_add_f32_e32 v241, v246, v241
	v_add_f32_e32 v159, v242, v159
	v_fmac_f32_e32 v250, 0xbf1a4643, v87
	v_fma_f32 v242, 0xbf1a4643, v93, -v251
	v_fmamk_f32 v245, v53, 0x3f3d2fb0, v244
	v_mul_f32_e32 v246, 0xbf763a35, v239
	v_mul_f32_e32 v247, 0xbf763a35, v240
	v_add_f32_e32 v160, v255, v160
	v_add_f32_e32 v241, v250, v241
	;; [unrolled: 1-line block ×3, first 2 shown]
	v_fmac_f32_e32 v252, 0x3f6eb680, v104
	v_fma_f32 v242, 0x3f6eb680, v106, -v253
	v_add_f32_e32 v243, v245, v243
	v_fma_f32 v245, 0xbe8c1d8e, v54, -v246
	v_fmamk_f32 v250, v58, 0xbe8c1d8e, v247
	v_add_f32_e32 v241, v252, v241
	v_add_f32_e32 v242, v242, v159
	v_fmac_f32_e32 v248, 0xbf7ba420, v63
	v_fma_f32 v249, 0xbf7ba420, v174, -v249
	v_add_f32_e32 v159, v245, v160
	v_add_f32_e32 v160, v250, v243
	v_mul_f32_e32 v243, 0xbe3c28d5, v168
	v_add_f32_e32 v168, v248, v241
	v_add_f32_e32 v241, v249, v242
	v_fmac_f32_e32 v254, 0x3f3d2fb0, v51
	v_fma_f32 v242, 0x3f3d2fb0, v53, -v244
	v_fma_f32 v244, 0xbf7ba420, v90, -v243
	v_mul_f32_e32 v170, 0x3eb8f4ab, v170
	v_mul_f32_e32 v245, 0xbe3c28d5, v167
	v_add_f32_e32 v167, v254, v168
	v_add_f32_e32 v168, v242, v241
	;; [unrolled: 1-line block ×3, first 2 shown]
	v_fma_f32 v242, 0x3f6eb680, v71, -v170
	v_fmamk_f32 v244, v92, 0xbf7ba420, v245
	v_mul_f32_e32 v169, 0x3eb8f4ab, v169
	v_mul_f32_e32 v171, 0xbf06c442, v171
	;; [unrolled: 1-line block ×3, first 2 shown]
	v_add_f32_e32 v241, v242, v241
	v_add_f32_e32 v242, v244, v9
	v_fmamk_f32 v244, v73, 0x3f6eb680, v169
	v_fmac_f32_e32 v243, 0xbf7ba420, v90
	v_mul_f32_e32 v172, 0xbf06c442, v172
	v_fmac_f32_e32 v170, 0x3f6eb680, v71
	v_fma_f32 v169, 0x3f6eb680, v73, -v169
	v_add_f32_e32 v242, v244, v242
	v_fmamk_f32 v244, v79, 0xbf59a7d5, v171
	v_add_f32_e32 v243, v243, v8
	v_fmac_f32_e32 v246, 0xbe8c1d8e, v54
	v_fma_f32 v248, 0xbf59a7d5, v77, -v172
	v_mul_f32_e32 v184, 0x3f2c7751, v184
	v_add_f32_e32 v242, v244, v242
	v_fmamk_f32 v244, v93, 0x3f3d2fb0, v231
	v_mul_f32_e32 v234, 0xbf4c4adb, v234
	v_add_f32_e32 v170, v170, v243
	v_fmac_f32_e32 v172, 0xbf59a7d5, v77
	v_fma_f32 v171, 0xbf59a7d5, v79, -v171
	v_add_f32_e32 v242, v244, v242
	v_fma_f32 v244, 0xbf7ba420, v92, -v245
	v_add_f32_e32 v241, v248, v241
	v_fma_f32 v248, 0x3f3d2fb0, v87, -v184
	v_add_f32_e32 v167, v246, v167
	v_mul_f32_e32 v233, 0xbf4c4adb, v233
	v_add_f32_e32 v244, v244, v9
	v_fmamk_f32 v246, v106, 0xbf1a4643, v234
	v_mul_f32_e32 v235, 0x3f65296c, v235
	v_add_f32_e32 v170, v172, v170
	v_fmac_f32_e32 v184, 0x3f3d2fb0, v87
	v_add_f32_e32 v169, v169, v244
	v_add_f32_e32 v241, v248, v241
	v_fma_f32 v245, 0xbf1a4643, v104, -v233
	v_add_f32_e32 v242, v246, v242
	v_mul_f32_e32 v236, 0x3f65296c, v236
	v_add_f32_e32 v169, v171, v169
	v_fma_f32 v171, 0x3f3d2fb0, v93, -v231
	v_fmamk_f32 v231, v174, 0x3ee437d1, v235
	v_add_f32_e32 v170, v184, v170
	v_fmac_f32_e32 v233, 0xbf1a4643, v104
	v_add_f32_e32 v241, v245, v241
	v_add_f32_e32 v169, v171, v169
	v_fma_f32 v171, 0xbf1a4643, v106, -v234
	v_fma_f32 v243, 0x3ee437d1, v63, -v236
	v_mul_f32_e32 v237, 0xbf763a35, v237
	v_add_f32_e32 v184, v231, v242
	v_mul_f32_e32 v231, 0xbf763a35, v238
	v_add_f32_e32 v170, v233, v170
	v_add_f32_e32 v169, v171, v169
	v_fmac_f32_e32 v236, 0x3ee437d1, v63
	v_fma_f32 v171, 0x3ee437d1, v174, -v235
	v_add_f32_e32 v172, v243, v241
	v_fma_f32 v241, 0xbe8c1d8e, v51, -v237
	v_fmamk_f32 v233, v53, 0xbe8c1d8e, v231
	v_mul_f32_e32 v234, 0x3f7ee86f, v239
	v_mul_f32_e32 v235, 0x3f7ee86f, v240
	v_add_f32_e32 v170, v236, v170
	v_add_f32_e32 v169, v171, v169
	v_fmac_f32_e32 v237, 0xbe8c1d8e, v51
	v_fma_f32 v171, 0xbe8c1d8e, v53, -v231
	v_fma_f32 v247, 0xbe8c1d8e, v58, -v247
	v_add_f32_e32 v172, v241, v172
	v_add_f32_e32 v184, v233, v184
	v_fma_f32 v231, 0x3dbcf732, v54, -v234
	v_fmamk_f32 v233, v58, 0x3dbcf732, v235
	v_add_f32_e32 v236, v237, v170
	v_add_f32_e32 v237, v171, v169
	v_fmac_f32_e32 v234, 0x3dbcf732, v54
	v_fma_f32 v235, 0x3dbcf732, v58, -v235
	v_add_co_u32 v238, null, v143, 17
	v_add_f32_e32 v168, v247, v168
	v_add_f32_e32 v169, v231, v172
	v_add_f32_e32 v170, v233, v184
	v_add_f32_e32 v171, v234, v236
	v_add_f32_e32 v172, v235, v237
	v_mul_u32_u24_e32 v117, 17, v238
	ds_write2_b64 v191, v[48:49], v[46:47] offset0:10 offset1:11
	ds_write2_b64 v191, v[44:45], v[42:43] offset0:12 offset1:13
	ds_write2_b64 v191, v[40:41], v[38:39] offset0:14 offset1:15
	ds_write_b64 v191, v[36:37] offset:128
	s_and_saveexec_b32 s4, vcc_lo
	s_cbranch_execz .LBB0_7
; %bb.6:
	v_add_f32_e32 v11, v11, v9
	v_add_f32_e32 v10, v10, v8
	;; [unrolled: 1-line block ×8, first 2 shown]
	v_mul_f32_e32 v28, 0x3ee437d1, v77
	v_mul_f32_e32 v29, 0x3ee437d1, v51
	v_add_f32_e32 v11, v31, v11
	v_add_f32_e32 v10, v30, v10
	v_sub_f32_e32 v28, v28, v76
	v_mul_f32_e32 v30, 0x3dbcf732, v87
	v_mul_f32_e32 v31, 0xbf1a4643, v63
	v_add_f32_e32 v11, v25, v11
	v_add_f32_e32 v10, v24, v10
	v_mul_f32_e32 v25, 0x3f3d2fb0, v90
	v_mul_f32_e32 v24, 0x3f3d2fb0, v92
	v_sub_f32_e32 v29, v29, v60
	v_add_f32_e32 v11, v27, v11
	v_add_f32_e32 v10, v26, v10
	v_mul_f32_e32 v27, 0x3f6eb680, v90
	v_sub_f32_e32 v25, v25, v94
	v_mul_f32_e32 v26, 0x3f6eb680, v92
	v_add_f32_e32 v11, v21, v11
	v_add_f32_e32 v10, v20, v10
	v_mul_f32_e32 v21, 0x3dbcf732, v90
	v_mul_f32_e32 v20, 0x3dbcf732, v92
	v_sub_f32_e32 v27, v27, v89
	v_add_f32_e32 v11, v23, v11
	v_add_f32_e32 v10, v22, v10
	v_mul_f32_e32 v23, 0x3ee437d1, v90
	v_sub_f32_e32 v21, v21, v100
	v_mul_f32_e32 v22, 0x3ee437d1, v92
	v_add_f32_e32 v11, v17, v11
	v_add_f32_e32 v10, v16, v10
	v_mul_f32_e32 v17, 0xbf1a4643, v90
	v_mul_f32_e32 v16, 0xbf1a4643, v92
	v_sub_f32_e32 v23, v23, v96
	v_add_f32_e32 v11, v19, v11
	v_mul_f32_e32 v19, 0xbe8c1d8e, v90
	v_add_f32_e32 v10, v18, v10
	v_sub_f32_e32 v17, v17, v230
	v_mul_f32_e32 v18, 0xbe8c1d8e, v92
	v_add_f32_e32 v16, v232, v16
	v_sub_f32_e32 v19, v19, v223
	v_add_f32_e32 v20, v108, v20
	v_add_f32_e32 v22, v98, v22
	;; [unrolled: 1-line block ×20, first 2 shown]
	v_mul_f32_e32 v8, 0xbf59a7d5, v73
	v_mul_f32_e32 v10, 0xbf59a7d5, v71
	;; [unrolled: 1-line block ×3, first 2 shown]
	v_add_f32_e32 v13, v14, v9
	v_mul_f32_e32 v9, 0x3f3d2fb0, v79
	v_add_f32_e32 v8, v213, v8
	v_sub_f32_e32 v10, v10, v201
	v_sub_f32_e32 v11, v11, v204
	v_mul_f32_e32 v15, 0xbf7ba420, v77
	v_add_f32_e32 v9, v216, v9
	v_add_f32_e32 v8, v8, v18
	;; [unrolled: 1-line block ×3, first 2 shown]
	v_mul_f32_e32 v19, 0xbf7ba420, v71
	v_sub_f32_e32 v15, v15, v110
	v_add_f32_e32 v12, v5, v12
	v_add_f32_e32 v8, v9, v8
	v_mul_f32_e32 v9, 0x3ee437d1, v93
	v_add_f32_e32 v10, v11, v10
	v_mul_f32_e32 v11, 0x3ee437d1, v87
	v_sub_f32_e32 v19, v19, v80
	v_add_f32_e32 v4, v4, v13
	v_add_f32_e32 v9, v220, v9
	;; [unrolled: 1-line block ×3, first 2 shown]
	v_sub_f32_e32 v11, v11, v206
	v_add_f32_e32 v19, v19, v21
	v_mul_f32_e32 v21, 0x3ee437d1, v58
	v_add_f32_e32 v8, v9, v8
	v_mul_f32_e32 v9, 0xbf7ba420, v106
	v_add_f32_e32 v4, v6, v4
	v_add_f32_e32 v21, v226, v21
	;; [unrolled: 1-line block ×4, first 2 shown]
	v_mul_f32_e32 v9, 0x3dbcf732, v174
	v_add_f32_e32 v9, v224, v9
	v_add_f32_e32 v8, v9, v8
	;; [unrolled: 1-line block ×3, first 2 shown]
	v_mul_f32_e32 v10, 0xbf7ba420, v104
	v_mul_f32_e32 v11, 0x3f6eb680, v53
	v_sub_f32_e32 v10, v10, v210
	v_add_f32_e32 v11, v225, v11
	v_add_f32_e32 v9, v10, v9
	v_mul_f32_e32 v10, 0x3dbcf732, v63
	v_add_f32_e32 v8, v11, v8
	v_mul_f32_e32 v11, 0xbf1a4643, v58
	v_sub_f32_e32 v10, v10, v215
	v_add_f32_e32 v11, v229, v11
	v_add_f32_e32 v9, v10, v9
	v_mul_f32_e32 v10, 0x3f6eb680, v51
	v_sub_f32_e32 v10, v10, v218
	v_add_f32_e32 v10, v10, v9
	v_mul_f32_e32 v9, 0xbf1a4643, v54
	v_sub_f32_e32 v14, v9, v228
	v_add_f32_e32 v9, v11, v8
	v_mul_f32_e32 v11, 0xbf7ba420, v79
	v_add_f32_e32 v8, v14, v10
	v_mul_f32_e32 v10, 0xbf1a4643, v73
	;; [unrolled: 2-line block ×3, first 2 shown]
	v_add_f32_e32 v10, v99, v10
	v_sub_f32_e32 v14, v14, v97
	v_add_f32_e32 v10, v10, v22
	v_mul_f32_e32 v22, 0x3f3d2fb0, v58
	v_add_f32_e32 v14, v14, v23
	v_add_f32_e32 v10, v11, v10
	v_mul_f32_e32 v11, 0xbe8c1d8e, v93
	v_add_f32_e32 v14, v15, v14
	v_mul_f32_e32 v15, 0xbe8c1d8e, v87
	v_add_f32_e32 v22, v198, v22
	v_add_f32_e32 v11, v166, v11
	v_sub_f32_e32 v15, v15, v165
	v_add_f32_e32 v10, v11, v10
	v_mul_f32_e32 v11, 0x3f3d2fb0, v106
	v_add_f32_e32 v11, v186, v11
	v_add_f32_e32 v10, v11, v10
	v_mul_f32_e32 v11, 0x3f6eb680, v174
	v_add_f32_e32 v11, v188, v11
	v_add_f32_e32 v10, v11, v10
	;; [unrolled: 1-line block ×3, first 2 shown]
	v_mul_f32_e32 v14, 0x3f3d2fb0, v104
	v_mul_f32_e32 v15, 0x3dbcf732, v53
	v_sub_f32_e32 v14, v14, v185
	v_add_f32_e32 v15, v196, v15
	v_add_f32_e32 v11, v14, v11
	v_mul_f32_e32 v14, 0x3f6eb680, v63
	v_add_f32_e32 v10, v15, v10
	v_mul_f32_e32 v15, 0xbf59a7d5, v58
	v_sub_f32_e32 v14, v14, v187
	v_add_f32_e32 v15, v199, v15
	v_add_f32_e32 v11, v14, v11
	v_mul_f32_e32 v14, 0x3dbcf732, v51
	v_sub_f32_e32 v14, v14, v195
	v_add_f32_e32 v14, v14, v11
	v_mul_f32_e32 v11, 0xbf59a7d5, v54
	v_sub_f32_e32 v18, v11, v197
	v_add_f32_e32 v11, v15, v10
	v_mul_f32_e32 v15, 0x3f6eb680, v79
	v_add_f32_e32 v10, v18, v14
	v_mul_f32_e32 v14, 0xbe8c1d8e, v73
	v_add_f32_e32 v15, v208, v15
	v_mul_f32_e32 v18, 0xbf7ba420, v73
	v_add_f32_e32 v14, v205, v14
	v_add_f32_e32 v18, v81, v18
	;; [unrolled: 1-line block ×3, first 2 shown]
	v_mul_f32_e32 v16, 0xbe8c1d8e, v71
	v_add_f32_e32 v14, v15, v14
	v_mul_f32_e32 v15, 0xbf59a7d5, v93
	v_sub_f32_e32 v16, v16, v200
	v_add_f32_e32 v15, v214, v15
	v_add_f32_e32 v14, v15, v14
	v_mul_f32_e32 v15, 0x3dbcf732, v106
	v_add_f32_e32 v15, v217, v15
	v_add_f32_e32 v14, v15, v14
	;; [unrolled: 1-line block ×3, first 2 shown]
	v_mul_f32_e32 v16, 0x3f6eb680, v77
	v_mul_f32_e32 v17, 0x3f3d2fb0, v174
	v_sub_f32_e32 v16, v16, v202
	v_add_f32_e32 v17, v219, v17
	v_add_f32_e32 v15, v16, v15
	v_mul_f32_e32 v16, 0xbf59a7d5, v87
	v_add_f32_e32 v14, v17, v14
	v_mul_f32_e32 v17, 0xbf7ba420, v53
	v_sub_f32_e32 v16, v16, v203
	v_add_f32_e32 v17, v221, v17
	v_add_f32_e32 v15, v16, v15
	v_mul_f32_e32 v16, 0x3dbcf732, v104
	v_add_f32_e32 v14, v17, v14
	v_mul_f32_e32 v17, 0xbe8c1d8e, v79
	v_sub_f32_e32 v16, v16, v207
	v_add_f32_e32 v5, v21, v14
	v_add_f32_e32 v17, v109, v17
	;; [unrolled: 1-line block ×3, first 2 shown]
	v_mul_f32_e32 v16, 0x3f3d2fb0, v63
	v_sub_f32_e32 v16, v16, v209
	v_add_f32_e32 v15, v16, v15
	v_add_f32_e32 v16, v18, v20
	v_mul_f32_e32 v20, 0xbe8c1d8e, v77
	v_mul_f32_e32 v18, 0xbf7ba420, v51
	v_add_f32_e32 v16, v17, v16
	v_mul_f32_e32 v17, 0x3f6eb680, v93
	v_sub_f32_e32 v20, v20, v107
	v_sub_f32_e32 v18, v18, v211
	v_add_f32_e32 v17, v164, v17
	v_add_f32_e32 v19, v20, v19
	v_mul_f32_e32 v20, 0x3f6eb680, v87
	v_add_f32_e32 v18, v18, v15
	v_add_f32_e32 v16, v17, v16
	v_mul_f32_e32 v17, 0x3ee437d1, v106
	v_sub_f32_e32 v20, v20, v111
	v_add_f32_e32 v17, v192, v17
	v_add_f32_e32 v16, v17, v16
	v_mul_f32_e32 v17, 0xbf59a7d5, v174
	v_add_f32_e32 v17, v194, v17
	v_add_f32_e32 v15, v17, v16
	v_mul_f32_e32 v17, 0x3ee437d1, v104
	v_add_f32_e32 v16, v20, v19
	v_mul_f32_e32 v19, 0xbf1a4643, v53
	v_mul_f32_e32 v20, 0x3ee437d1, v54
	v_sub_f32_e32 v17, v17, v66
	v_add_f32_e32 v19, v193, v19
	v_sub_f32_e32 v20, v20, v212
	v_add_f32_e32 v16, v17, v16
	v_mul_f32_e32 v17, 0xbf59a7d5, v63
	v_add_f32_e32 v15, v19, v15
	v_mul_f32_e32 v19, 0x3dbcf732, v73
	v_sub_f32_e32 v17, v17, v189
	v_add_f32_e32 v13, v22, v15
	v_add_f32_e32 v19, v75, v19
	;; [unrolled: 1-line block ×3, first 2 shown]
	v_mul_f32_e32 v17, 0xbf1a4643, v51
	v_sub_f32_e32 v17, v17, v190
	v_add_f32_e32 v23, v17, v16
	v_mul_f32_e32 v17, 0xbf1a4643, v79
	v_add_f32_e32 v16, v19, v24
	v_mul_f32_e32 v19, 0x3dbcf732, v71
	v_mul_f32_e32 v24, 0xbf1a4643, v77
	v_add_f32_e32 v17, v83, v17
	v_sub_f32_e32 v19, v19, v74
	v_sub_f32_e32 v24, v24, v82
	v_add_f32_e32 v16, v17, v16
	v_mul_f32_e32 v17, 0xbf7ba420, v93
	v_add_f32_e32 v19, v19, v25
	v_mul_f32_e32 v25, 0x3f3d2fb0, v54
	v_add_f32_e32 v17, v103, v17
	v_add_f32_e32 v19, v24, v19
	v_mul_f32_e32 v24, 0xbf7ba420, v87
	v_sub_f32_e32 v25, v25, v67
	v_add_f32_e32 v16, v17, v16
	v_mul_f32_e32 v17, 0xbf59a7d5, v106
	v_sub_f32_e32 v24, v24, v101
	v_add_f32_e32 v17, v163, v17
	v_add_f32_e32 v19, v24, v19
	v_mul_f32_e32 v24, 0xbf59a7d5, v104
	v_add_f32_e32 v16, v17, v16
	v_mul_f32_e32 v17, 0xbe8c1d8e, v174
	v_sub_f32_e32 v24, v24, v158
	v_add_f32_e32 v17, v176, v17
	v_add_f32_e32 v19, v24, v19
	v_mul_f32_e32 v24, 0xbe8c1d8e, v63
	v_add_f32_e32 v16, v17, v16
	v_mul_f32_e32 v17, 0x3ee437d1, v53
	v_sub_f32_e32 v24, v24, v175
	v_add_f32_e32 v17, v61, v17
	v_add_f32_e32 v16, v17, v16
	;; [unrolled: 1-line block ×3, first 2 shown]
	v_mul_f32_e32 v19, 0x3f3d2fb0, v73
	v_mul_f32_e32 v24, 0x3f3d2fb0, v71
	v_add_f32_e32 v29, v29, v17
	v_add_f32_e32 v19, v72, v19
	v_sub_f32_e32 v24, v24, v70
	v_add_f32_e32 v19, v19, v26
	v_mul_f32_e32 v26, 0x3ee437d1, v79
	v_add_f32_e32 v24, v24, v27
	v_mul_f32_e32 v27, 0x3dbcf732, v93
	v_add_f32_e32 v26, v78, v26
	v_add_f32_e32 v24, v28, v24
	v_sub_f32_e32 v28, v30, v86
	v_mul_f32_e32 v30, 0xbe8c1d8e, v104
	v_add_f32_e32 v19, v26, v19
	v_add_f32_e32 v26, v88, v27
	v_mul_f32_e32 v27, 0xbe8c1d8e, v106
	v_add_f32_e32 v24, v28, v24
	v_sub_f32_e32 v28, v30, v102
	v_mul_f32_e32 v30, 0x3f6eb680, v58
	v_add_f32_e32 v19, v26, v19
	v_add_f32_e32 v26, v105, v27
	v_mul_f32_e32 v27, 0xbf1a4643, v174
	;; [unrolled: 6-line block ×4, first 2 shown]
	v_add_f32_e32 v30, v59, v30
	v_add_f32_e32 v24, v28, v24
	;; [unrolled: 1-line block ×4, first 2 shown]
	v_mul_f32_e32 v27, 0x3f6eb680, v54
	v_sub_f32_e32 v26, v31, v55
	v_add_f32_e32 v15, v30, v16
	v_add_f32_e32 v16, v64, v4
	;; [unrolled: 1-line block ×3, first 2 shown]
	v_sub_f32_e32 v14, v27, v57
	v_add_f32_e32 v6, v26, v24
	v_add_f32_e32 v17, v65, v12
	v_lshl_add_u32 v19, v117, 3, v116
	v_add_f32_e32 v12, v25, v23
	v_add_f32_e32 v14, v14, v29
	;; [unrolled: 1-line block ×3, first 2 shown]
	ds_write2_b64 v19, v[16:17], v[6:7] offset1:1
	ds_write2_b64 v19, v[14:15], v[10:11] offset0:2 offset1:3
	ds_write2_b64 v19, v[12:13], v[8:9] offset0:4 offset1:5
	;; [unrolled: 1-line block ×7, first 2 shown]
	ds_write_b64 v19, v[2:3] offset:128
.LBB0_7:
	s_or_b32 exec_lo, exec_lo, s4
	v_add_nc_u16 v8, v143, 34
	v_add_nc_u16 v9, v143, 51
	;; [unrolled: 1-line block ×5, first 2 shown]
	v_and_b32_e32 v13, 0xff, v8
	v_and_b32_e32 v15, 0xff, v9
	;; [unrolled: 1-line block ×3, first 2 shown]
	v_add_nc_u16 v14, v143, 0x77
	v_and_b32_e32 v17, 0xff, v11
	v_mul_lo_u16 v13, 0xf1, v13
	v_mul_lo_u16 v15, 0xf1, v15
	;; [unrolled: 1-line block ×3, first 2 shown]
	v_and_b32_e32 v18, 0xff, v12
	v_and_b32_e32 v19, 0xff, v14
	v_lshrrev_b16 v13, 12, v13
	v_lshrrev_b16 v15, 12, v15
	;; [unrolled: 1-line block ×3, first 2 shown]
	v_mul_lo_u16 v17, 0xf1, v17
	v_mul_lo_u16 v18, 0xf1, v18
	;; [unrolled: 1-line block ×4, first 2 shown]
	v_lshlrev_b32_e32 v4, 4, v143
	v_mul_lo_u16 v19, 0xf1, v19
	v_lshrrev_b16 v17, 12, v17
	v_sub_nc_u16 v86, v8, v13
	v_mul_lo_u16 v13, v16, 17
	v_sub_nc_u16 v87, v9, v15
	v_lshrrev_b16 v18, 12, v18
	s_waitcnt lgkmcnt(0)
	v_lshlrev_b16 v9, 1, v86
	v_sub_nc_u16 v88, v10, v13
	v_lshlrev_b16 v10, 1, v87
	s_barrier
	buffer_gl0_inv
	global_load_dwordx4 v[4:7], v4, s[0:1]
	v_lshrrev_b16 v8, 12, v19
	v_mul_lo_u16 v16, v17, 17
	v_mul_lo_u16 v15, v18, 17
	v_and_b32_e32 v9, 0xfe, v9
	v_and_b32_e32 v10, 0xfe, v10
	v_mul_lo_u16 v8, v8, 17
	v_sub_nc_u16 v89, v11, v16
	v_sub_nc_u16 v90, v12, v15
	v_lshlrev_b32_e32 v9, 3, v9
	v_lshlrev_b32_e32 v10, 3, v10
	v_sub_nc_u16 v91, v14, v8
	v_lshlrev_b16 v8, 1, v89
	v_lshlrev_b16 v11, 1, v88
	s_clause 0x1
	global_load_dwordx4 v[28:31], v9, s[0:1]
	global_load_dwordx4 v[24:27], v10, s[0:1]
	v_lshlrev_b16 v9, 1, v90
	v_and_b32_e32 v8, 0xfe, v8
	v_lshlrev_b16 v10, 1, v91
	v_and_b32_e32 v11, 0xfe, v11
	v_add_nc_u32_e32 v104, 0x800, v177
	v_and_b32_e32 v9, 0xfe, v9
	v_lshlrev_b32_e32 v8, 3, v8
	v_and_b32_e32 v10, 0xfe, v10
	v_lshlrev_b32_e32 v11, 3, v11
	;; [unrolled: 2-line block ×3, first 2 shown]
	global_load_dwordx4 v[16:19], v8, s[0:1]
	v_lshlrev_b32_e32 v8, 3, v10
	s_clause 0x2
	global_load_dwordx4 v[20:23], v11, s[0:1]
	global_load_dwordx4 v[12:15], v9, s[0:1]
	;; [unrolled: 1-line block ×3, first 2 shown]
	ds_read2_b64 v[32:35], v177 offset1:17
	ds_read2_b64 v[36:39], v177 offset0:136 offset1:153
	ds_read2_b64 v[40:43], v177 offset0:34 offset1:51
	;; [unrolled: 1-line block ×11, first 2 shown]
	v_and_b32_e32 v90, 0xff, v90
	v_and_b32_e32 v91, 0xff, v91
	v_lshl_add_u32 v157, v89, 3, v116
	s_waitcnt vmcnt(0) lgkmcnt(0)
	s_barrier
	v_lshl_add_u32 v150, v90, 3, v116
	v_lshl_add_u32 v124, v91, 3, v116
	buffer_gl0_inv
	v_mad_u64_u32 v[82:83], null, v143, 56, s[0:1]
	v_and_b32_e32 v86, 0xff, v86
	v_and_b32_e32 v87, 0xff, v87
	;; [unrolled: 1-line block ×3, first 2 shown]
	v_lshl_add_u32 v192, v69, 3, v68
	s_add_u32 s4, s6, 0xcc0
	v_lshl_add_u32 v164, v86, 3, v116
	v_lshl_add_u32 v163, v87, 3, v116
	;; [unrolled: 1-line block ×3, first 2 shown]
	v_add_nc_u32_e32 v86, 0x400, v157
	v_add_nc_u32_e32 v87, 0x800, v150
	;; [unrolled: 1-line block ×3, first 2 shown]
	s_addc_u32 s5, s7, 0
	v_add_nc_u32_e32 v111, 0x800, v192
	v_mul_f32_e32 v89, v37, v5
	v_mul_f32_e32 v90, v36, v5
	;; [unrolled: 1-line block ×8, first 2 shown]
	v_fma_f32 v36, v36, v4, -v89
	v_fmac_f32_e32 v90, v37, v4
	v_fma_f32 v37, v64, v6, -v91
	v_fmac_f32_e32 v92, v65, v6
	;; [unrolled: 2-line block ×4, first 2 shown]
	v_add_f32_e32 v65, v36, v37
	v_add_f32_e32 v89, v90, v92
	;; [unrolled: 1-line block ×4, first 2 shown]
	v_sub_f32_e32 v95, v94, v96
	v_add_f32_e32 v94, v94, v96
	v_add_f32_e32 v64, v32, v36
	v_sub_f32_e32 v66, v90, v92
	v_add_f32_e32 v67, v33, v90
	v_sub_f32_e32 v90, v36, v37
	v_fma_f32 v32, -0.5, v65, v32
	v_fma_f32 v33, -0.5, v89, v33
	v_add_f32_e32 v91, v34, v38
	v_sub_f32_e32 v98, v38, v39
	v_fma_f32 v34, -0.5, v93, v34
	v_fmac_f32_e32 v35, -0.5, v94
	v_add_f32_e32 v36, v64, v37
	v_add_f32_e32 v37, v67, v92
	v_fmamk_f32 v64, v66, 0x3f5db3d7, v32
	v_fmamk_f32 v65, v90, 0xbf5db3d7, v33
	v_add_f32_e32 v38, v91, v39
	v_add_f32_e32 v39, v97, v96
	v_fmac_f32_e32 v32, 0xbf5db3d7, v66
	v_fmac_f32_e32 v33, 0x3f5db3d7, v90
	v_fmamk_f32 v66, v95, 0x3f5db3d7, v34
	v_fmac_f32_e32 v34, 0xbf5db3d7, v95
	v_fmamk_f32 v67, v98, 0xbf5db3d7, v35
	v_fmac_f32_e32 v35, 0x3f5db3d7, v98
	ds_write2_b64 v177, v[36:37], v[64:65] offset1:17
	ds_write2_b64 v177, v[32:33], v[38:39] offset0:34 offset1:51
	ds_write2_b64 v177, v[66:67], v[34:35] offset0:68 offset1:85
	v_mul_f32_e32 v32, v45, v29
	v_mul_f32_e32 v33, v44, v29
	;; [unrolled: 1-line block ×24, first 2 shown]
	v_fma_f32 v32, v44, v28, -v32
	v_fmac_f32_e32 v33, v45, v28
	v_fma_f32 v34, v70, v30, -v34
	v_fmac_f32_e32 v35, v71, v30
	;; [unrolled: 2-line block ×12, first 2 shown]
	v_add_f32_e32 v60, v40, v32
	v_add_f32_e32 v61, v32, v34
	;; [unrolled: 1-line block ×7, first 2 shown]
	v_sub_f32_e32 v78, v65, v67
	v_add_f32_e32 v79, v49, v65
	v_add_f32_e32 v65, v65, v67
	v_add_f32_e32 v81, v46, v47
	v_sub_f32_e32 v89, v90, v92
	v_add_f32_e32 v91, v51, v90
	v_add_f32_e32 v90, v90, v92
	v_add_f32_e32 v95, v52, v53
	;; [unrolled: 4-line block ×3, first 2 shown]
	v_sub_f32_e32 v103, v98, v100
	v_add_f32_e32 v105, v59, v98
	v_add_f32_e32 v98, v98, v100
	v_sub_f32_e32 v62, v33, v35
	v_sub_f32_e32 v66, v32, v34
	v_add_f32_e32 v70, v42, v36
	v_add_f32_e32 v76, v48, v44
	v_sub_f32_e32 v80, v44, v45
	v_add_f32_e32 v44, v50, v46
	v_sub_f32_e32 v93, v46, v47
	;; [unrolled: 2-line block ×3, first 2 shown]
	v_add_f32_e32 v52, v58, v54
	v_add_f32_e32 v32, v60, v34
	v_fma_f32 v34, -0.5, v61, v40
	v_add_f32_e32 v33, v63, v35
	v_fma_f32 v35, -0.5, v64, v41
	v_sub_f32_e32 v72, v37, v39
	v_add_f32_e32 v73, v43, v37
	v_sub_f32_e32 v75, v36, v38
	v_fma_f32 v42, -0.5, v71, v42
	v_fmac_f32_e32 v43, -0.5, v74
	v_sub_f32_e32 v106, v54, v55
	v_fma_f32 v40, -0.5, v77, v48
	v_fma_f32 v41, -0.5, v65, v49
	;; [unrolled: 1-line block ×3, first 2 shown]
	v_fmac_f32_e32 v51, -0.5, v90
	v_fma_f32 v48, -0.5, v95, v56
	v_fma_f32 v49, -0.5, v94, v57
	;; [unrolled: 1-line block ×3, first 2 shown]
	v_fmac_f32_e32 v59, -0.5, v98
	v_add_f32_e32 v36, v70, v38
	v_add_f32_e32 v52, v52, v55
	v_fmamk_f32 v54, v62, 0x3f5db3d7, v34
	v_fmamk_f32 v55, v66, 0xbf5db3d7, v35
	v_add_co_u32 v70, s0, 0x3b8, v82
	v_fmac_f32_e32 v34, 0xbf5db3d7, v62
	v_fmac_f32_e32 v35, 0x3f5db3d7, v66
	v_add_f32_e32 v37, v73, v39
	v_fmamk_f32 v56, v72, 0x3f5db3d7, v42
	v_fmamk_f32 v57, v75, 0xbf5db3d7, v43
	v_add_co_ci_u32_e64 v71, s0, 0, v83, s0
	v_fmac_f32_e32 v42, 0xbf5db3d7, v72
	v_fmac_f32_e32 v43, 0x3f5db3d7, v75
	v_add_f32_e32 v38, v76, v45
	v_add_f32_e32 v39, v79, v67
	;; [unrolled: 1-line block ×4, first 2 shown]
	v_fmamk_f32 v60, v78, 0x3f5db3d7, v40
	v_fmac_f32_e32 v40, 0xbf5db3d7, v78
	v_fmamk_f32 v61, v80, 0xbf5db3d7, v41
	v_fmac_f32_e32 v41, 0x3f5db3d7, v80
	;; [unrolled: 2-line block ×6, first 2 shown]
	v_fmamk_f32 v66, v103, 0x3f5db3d7, v58
	v_fmamk_f32 v67, v106, 0xbf5db3d7, v59
	v_add_f32_e32 v44, v44, v47
	v_add_f32_e32 v45, v91, v92
	;; [unrolled: 1-line block ×3, first 2 shown]
	v_fmac_f32_e32 v58, 0xbf5db3d7, v103
	v_fmac_f32_e32 v59, 0x3f5db3d7, v106
	ds_write2_b64 v164, v[32:33], v[54:55] offset0:102 offset1:119
	ds_write_b64 v164, v[34:35] offset:1088
	ds_write2_b64 v163, v[36:37], v[56:57] offset0:153 offset1:170
	ds_write_b64 v163, v[42:43] offset:1496
	;; [unrolled: 2-line block ×6, first 2 shown]
	s_waitcnt lgkmcnt(0)
	s_barrier
	buffer_gl0_inv
	s_clause 0xb
	global_load_dwordx4 v[64:67], v[82:83], off offset:272
	global_load_dwordx4 v[52:55], v[82:83], off offset:288
	global_load_dwordx4 v[36:39], v[82:83], off offset:304
	global_load_dwordx2 v[165:166], v[82:83], off offset:320
	global_load_dwordx4 v[60:63], v[82:83], off offset:1224
	global_load_dwordx4 v[48:51], v[82:83], off offset:1240
	global_load_dwordx4 v[40:43], v[82:83], off offset:1256
	global_load_dwordx2 v[184:185], v[82:83], off offset:1272
	;; [unrolled: 4-line block ×3, first 2 shown]
	ds_read2_b64 v[70:73], v177 offset0:34 offset1:51
	ds_read2_b64 v[74:77], v177 offset0:102 offset1:119
	;; [unrolled: 1-line block ×8, first 2 shown]
	ds_read2_b64 v[193:196], v177 offset1:17
	ds_read2_b64 v[197:200], v177 offset0:170 offset1:187
	ds_read2_b64 v[201:204], v104 offset0:16 offset1:33
	;; [unrolled: 1-line block ×3, first 2 shown]
	v_lshlrev_b32_e32 v103, 3, v143
	v_add_nc_u32_e32 v88, 0x400, v177
	s_waitcnt vmcnt(11) lgkmcnt(11)
	v_mul_f32_e32 v68, v73, v65
	v_mul_f32_e32 v69, v72, v65
	s_waitcnt lgkmcnt(10)
	v_mul_f32_e32 v82, v75, v67
	v_mul_f32_e32 v83, v74, v67
	s_waitcnt vmcnt(10) lgkmcnt(9)
	v_mul_f32_e32 v86, v81, v53
	v_mul_f32_e32 v87, v80, v53
	s_waitcnt lgkmcnt(8)
	v_mul_f32_e32 v101, v90, v55
	v_mul_f32_e32 v102, v89, v55
	;; [unrolled: 6-line block ×3, first 2 shown]
	s_waitcnt vmcnt(8) lgkmcnt(5)
	v_mul_f32_e32 v211, v108, v166
	v_mul_f32_e32 v212, v107, v166
	s_waitcnt vmcnt(7) lgkmcnt(4)
	v_mul_f32_e32 v213, v174, v61
	v_mul_f32_e32 v214, v173, v61
	v_mul_f32_e32 v215, v77, v63
	v_mul_f32_e32 v216, v76, v63
	s_waitcnt vmcnt(6) lgkmcnt(2)
	v_mul_f32_e32 v217, v198, v49
	v_mul_f32_e32 v218, v197, v49
	;; [unrolled: 5-line block ×4, first 2 shown]
	s_waitcnt vmcnt(3)
	v_mul_f32_e32 v227, v176, v57
	v_mul_f32_e32 v228, v175, v57
	v_mul_f32_e32 v229, v79, v59
	v_mul_f32_e32 v230, v78, v59
	s_waitcnt vmcnt(2)
	v_mul_f32_e32 v231, v200, v45
	v_mul_f32_e32 v232, v199, v45
	v_mul_f32_e32 v233, v94, v47
	v_mul_f32_e32 v234, v93, v47
	s_waitcnt vmcnt(1)
	v_mul_f32_e32 v235, v204, v33
	v_mul_f32_e32 v236, v203, v33
	v_mul_f32_e32 v237, v106, v35
	v_mul_f32_e32 v238, v105, v35
	s_waitcnt vmcnt(0)
	v_mul_f32_e32 v239, v208, v183
	v_mul_f32_e32 v240, v207, v183
	v_fma_f32 v68, v72, v64, -v68
	v_fmac_f32_e32 v69, v73, v64
	v_fma_f32 v72, v74, v66, -v82
	v_fmac_f32_e32 v83, v75, v66
	;; [unrolled: 2-line block ×21, first 2 shown]
	v_sub_f32_e32 v74, v193, v74
	v_sub_f32_e32 v97, v194, v102
	v_sub_f32_e32 v80, v72, v80
	v_sub_f32_e32 v98, v83, v210
	v_sub_f32_e32 v75, v68, v75
	v_sub_f32_e32 v99, v69, v110
	v_sub_f32_e32 v81, v73, v81
	v_sub_f32_e32 v100, v87, v212
	v_sub_f32_e32 v86, v195, v86
	v_sub_f32_e32 v101, v196, v220
	v_sub_f32_e32 v90, v76, v90
	v_sub_f32_e32 v102, v216, v224
	v_sub_f32_e32 v89, v82, v89
	v_sub_f32_e32 v105, v214, v222
	v_sub_f32_e32 v91, v77, v91
	v_sub_f32_e32 v106, v218, v226
	v_sub_f32_e32 v93, v70, v93
	v_sub_f32_e32 v107, v71, v234
	v_sub_f32_e32 v95, v78, v95
	v_sub_f32_e32 v108, v230, v238
	v_sub_f32_e32 v94, v92, v94
	v_sub_f32_e32 v109, v228, v236
	v_sub_f32_e32 v96, v79, v96
	v_sub_f32_e32 v110, v232, v240
	v_fma_f32 v83, v83, 2.0, -v98
	v_fma_f32 v87, v87, 2.0, -v100
	v_sub_f32_e32 v175, v74, v98
	v_add_f32_e32 v176, v97, v80
	v_sub_f32_e32 v98, v75, v100
	v_add_f32_e32 v100, v99, v81
	v_fma_f32 v173, v193, 2.0, -v74
	v_fma_f32 v174, v194, 2.0, -v97
	;; [unrolled: 1-line block ×14, first 2 shown]
	v_add_f32_e32 v199, v101, v90
	v_fma_f32 v200, v70, 2.0, -v93
	v_fma_f32 v201, v71, 2.0, -v107
	;; [unrolled: 1-line block ×8, first 2 shown]
	v_sub_f32_e32 v198, v86, v102
	v_sub_f32_e32 v102, v89, v106
	v_add_f32_e32 v106, v105, v91
	v_sub_f32_e32 v203, v93, v108
	v_add_f32_e32 v204, v107, v95
	;; [unrolled: 2-line block ×3, first 2 shown]
	v_fma_f32 v110, v74, 2.0, -v175
	v_fma_f32 v205, v97, 2.0, -v176
	;; [unrolled: 1-line block ×4, first 2 shown]
	v_sub_f32_e32 v72, v173, v72
	v_sub_f32_e32 v108, v174, v83
	;; [unrolled: 1-line block ×8, first 2 shown]
	v_fma_f32 v207, v101, 2.0, -v199
	v_sub_f32_e32 v209, v200, v70
	v_sub_f32_e32 v210, v201, v71
	;; [unrolled: 1-line block ×4, first 2 shown]
	v_fmamk_f32 v80, v98, 0x3f3504f3, v175
	v_fmamk_f32 v81, v100, 0x3f3504f3, v176
	v_fma_f32 v206, v86, 2.0, -v198
	v_fma_f32 v208, v89, 2.0, -v102
	;; [unrolled: 1-line block ×7, first 2 shown]
	v_fmamk_f32 v86, v97, 0xbf3504f3, v110
	v_fmamk_f32 v87, v99, 0xbf3504f3, v205
	;; [unrolled: 1-line block ×5, first 2 shown]
	v_fma_f32 v173, v173, 2.0, -v72
	v_fma_f32 v174, v174, 2.0, -v108
	;; [unrolled: 1-line block ×4, first 2 shown]
	v_add_f32_e32 v90, v108, v73
	v_fma_f32 v193, v193, 2.0, -v76
	v_fma_f32 v194, v194, 2.0, -v195
	;; [unrolled: 1-line block ×4, first 2 shown]
	v_sub_f32_e32 v89, v72, v74
	v_sub_f32_e32 v93, v76, v77
	v_fma_f32 v197, v200, 2.0, -v209
	v_fma_f32 v200, v201, 2.0, -v210
	v_fma_f32 v77, v78, 2.0, -v79
	v_fma_f32 v78, v202, 2.0, -v101
	v_fmamk_f32 v82, v102, 0x3f3504f3, v198
	v_fmac_f32_e32 v80, 0xbf3504f3, v100
	v_fmac_f32_e32 v81, 0x3f3504f3, v98
	v_fmamk_f32 v91, v208, 0xbf3504f3, v206
	v_fmamk_f32 v92, v105, 0xbf3504f3, v207
	v_add_f32_e32 v94, v195, v75
	v_fmamk_f32 v74, v213, 0xbf3504f3, v211
	v_fmamk_f32 v75, v109, 0xbf3504f3, v212
	v_fmac_f32_e32 v86, 0xbf3504f3, v99
	v_fmac_f32_e32 v87, 0x3f3504f3, v97
	;; [unrolled: 1-line block ×3, first 2 shown]
	v_sub_f32_e32 v68, v209, v101
	v_fmac_f32_e32 v70, 0xbf3504f3, v96
	v_fmac_f32_e32 v71, 0x3f3504f3, v95
	v_sub_f32_e32 v95, v173, v107
	v_sub_f32_e32 v96, v174, v214
	;; [unrolled: 1-line block ×4, first 2 shown]
	v_fma_f32 v97, v72, 2.0, -v89
	v_sub_f32_e32 v72, v197, v77
	v_sub_f32_e32 v73, v200, v78
	v_fmac_f32_e32 v82, 0xbf3504f3, v106
	v_add_f32_e32 v69, v210, v79
	v_fma_f32 v99, v175, 2.0, -v80
	v_fma_f32 v100, v176, 2.0, -v81
	v_fmac_f32_e32 v91, 0xbf3504f3, v105
	v_fmac_f32_e32 v92, 0x3f3504f3, v208
	;; [unrolled: 1-line block ×4, first 2 shown]
	v_fma_f32 v98, v108, 2.0, -v90
	v_fma_f32 v109, v110, 2.0, -v86
	;; [unrolled: 1-line block ×3, first 2 shown]
	ds_write_b64 v177, v[80:81] offset:2856
	v_fma_f32 v80, v173, 2.0, -v95
	v_fma_f32 v81, v174, 2.0, -v96
	v_fma_f32 v175, v193, 2.0, -v101
	v_fma_f32 v176, v194, 2.0, -v102
	v_fma_f32 v106, v195, 2.0, -v94
	v_fma_f32 v195, v197, 2.0, -v72
	v_fma_f32 v196, v200, 2.0, -v73
	v_fma_f32 v105, v76, 2.0, -v93
	v_fma_f32 v107, v198, 2.0, -v82
	v_fma_f32 v108, v199, 2.0, -v83
	v_fma_f32 v76, v209, 2.0, -v68
	v_fma_f32 v77, v210, 2.0, -v69
	v_fma_f32 v78, v203, 2.0, -v70
	v_fma_f32 v79, v204, 2.0, -v71
	v_fma_f32 v193, v206, 2.0, -v91
	v_fma_f32 v194, v207, 2.0, -v92
	v_fma_f32 v173, v211, 2.0, -v74
	v_fma_f32 v174, v212, 2.0, -v75
	ds_write2_b64 v177, v[99:100], v[95:96] offset0:153 offset1:204
	ds_write2_b64 v88, v[86:87], v[89:90] offset0:127 offset1:178
	;; [unrolled: 1-line block ×3, first 2 shown]
	ds_write2_b64 v177, v[80:81], v[175:176] offset1:17
	ds_write_b64 v177, v[195:196] offset:272
	ds_write2_b64 v192, v[193:194], v[173:174] offset0:68 offset1:85
	ds_write2_b64 v192, v[105:106], v[76:77] offset0:119 offset1:136
	;; [unrolled: 1-line block ×7, first 2 shown]
	v_add_co_u32 v82, s0, s4, v103
	v_add_co_ci_u32_e64 v83, null, s5, 0, s0
	s_waitcnt lgkmcnt(0)
	v_add_co_u32 v80, s0, 0x800, v82
	s_barrier
	buffer_gl0_inv
	s_clause 0x4
	global_load_dwordx2 v[101:102], v103, s[4:5]
	global_load_dwordx2 v[109:110], v103, s[4:5] offset:192
	global_load_dwordx2 v[175:176], v103, s[4:5] offset:384
	;; [unrolled: 1-line block ×4, first 2 shown]
	v_add_co_ci_u32_e64 v81, s0, 0, v83, s0
	s_clause 0xb
	global_load_dwordx2 v[209:210], v103, s[4:5] offset:960
	global_load_dwordx2 v[211:212], v103, s[4:5] offset:1152
	;; [unrolled: 1-line block ×6, first 2 shown]
	global_load_dwordx2 v[221:222], v[80:81], off offset:64
	global_load_dwordx2 v[223:224], v85, s[4:5]
	global_load_dwordx2 v[225:226], v[80:81], off offset:448
	global_load_dwordx2 v[227:228], v[80:81], off offset:640
	;; [unrolled: 1-line block ×3, first 2 shown]
	global_load_dwordx2 v[231:232], v84, s[4:5]
	ds_read2_b64 v[84:87], v177 offset1:24
	ds_read2_b64 v[89:92], v177 offset0:48 offset1:72
	ds_read2_b64 v[93:96], v177 offset0:96 offset1:120
	;; [unrolled: 1-line block ×7, first 2 shown]
	ds_read_b64 v[233:234], v177 offset:3072
	s_waitcnt vmcnt(16) lgkmcnt(8)
	v_mul_f32_e32 v235, v85, v102
	v_mul_f32_e32 v103, v84, v102
	s_waitcnt vmcnt(15)
	v_mul_f32_e32 v237, v87, v110
	v_mul_f32_e32 v111, v86, v110
	s_waitcnt vmcnt(14) lgkmcnt(7)
	v_mul_f32_e32 v238, v90, v176
	v_mul_f32_e32 v236, v89, v176
	s_waitcnt vmcnt(13)
	v_mul_f32_e32 v239, v92, v206
	v_mul_f32_e32 v176, v91, v206
	;; [unrolled: 6-line block ×8, first 2 shown]
	s_waitcnt vmcnt(0) lgkmcnt(0)
	v_mul_f32_e32 v252, v234, v232
	v_mul_f32_e32 v230, v233, v232
	v_fma_f32 v102, v84, v101, -v235
	v_fmac_f32_e32 v103, v85, v101
	v_fma_f32 v110, v86, v109, -v237
	v_fmac_f32_e32 v111, v87, v109
	;; [unrolled: 2-line block ×17, first 2 shown]
	ds_write2_b64 v177, v[102:103], v[110:111] offset1:24
	ds_write2_b64 v177, v[235:236], v[175:176] offset0:48 offset1:72
	ds_write2_b64 v177, v[205:206], v[207:208] offset0:96 offset1:120
	;; [unrolled: 1-line block ×7, first 2 shown]
	ds_write_b64 v177, v[229:230] offset:3072
	s_and_saveexec_b32 s0, vcc_lo
	s_cbranch_execz .LBB0_9
; %bb.8:
	s_clause 0x10
	global_load_dwordx2 v[101:102], v[82:83], off offset:136
	global_load_dwordx2 v[109:110], v[82:83], off offset:328
	;; [unrolled: 1-line block ×17, first 2 shown]
	ds_read2_b64 v[80:83], v177 offset0:17 offset1:41
	ds_read2_b64 v[84:87], v177 offset0:65 offset1:89
	;; [unrolled: 1-line block ×8, first 2 shown]
	ds_read_b64 v[229:230], v177 offset:3208
	s_waitcnt vmcnt(16) lgkmcnt(8)
	v_mul_f32_e32 v231, v81, v102
	v_mul_f32_e32 v103, v80, v102
	s_waitcnt vmcnt(15)
	v_mul_f32_e32 v233, v83, v110
	v_mul_f32_e32 v111, v82, v110
	s_waitcnt vmcnt(14) lgkmcnt(7)
	v_mul_f32_e32 v234, v85, v176
	v_mul_f32_e32 v232, v84, v176
	s_waitcnt vmcnt(13)
	v_mul_f32_e32 v235, v87, v202
	v_mul_f32_e32 v176, v86, v202
	;; [unrolled: 6-line block ×8, first 2 shown]
	s_waitcnt vmcnt(0) lgkmcnt(0)
	v_mul_f32_e32 v248, v230, v228
	v_mul_f32_e32 v226, v229, v228
	v_fma_f32 v102, v80, v101, -v231
	v_fmac_f32_e32 v103, v81, v101
	v_fma_f32 v110, v82, v109, -v233
	v_fmac_f32_e32 v111, v83, v109
	;; [unrolled: 2-line block ×17, first 2 shown]
	ds_write2_b64 v177, v[102:103], v[110:111] offset0:17 offset1:41
	ds_write2_b64 v177, v[231:232], v[175:176] offset0:65 offset1:89
	;; [unrolled: 1-line block ×8, first 2 shown]
	ds_write_b64 v177, v[225:226] offset:3208
.LBB0_9:
	s_or_b32 exec_lo, exec_lo, s0
	s_waitcnt lgkmcnt(0)
	s_barrier
	buffer_gl0_inv
	ds_read2_b64 v[108:111], v177 offset1:24
	ds_read2_b64 v[100:103], v177 offset0:48 offset1:72
	ds_read2_b64 v[92:95], v177 offset0:96 offset1:120
	;; [unrolled: 1-line block ×7, first 2 shown]
	ds_read_b64 v[175:176], v177 offset:3072
	s_and_saveexec_b32 s0, vcc_lo
	s_cbranch_execz .LBB0_11
; %bb.10:
	v_lshl_add_u32 v68, v143, 3, v116
	v_add_nc_u32_e32 v0, 0x400, v68
	ds_read2_b64 v[159:162], v68 offset0:185 offset1:209
	v_add_nc_u32_e32 v1, 0x800, v68
	ds_read2_b64 v[151:154], v0 offset0:105 offset1:129
	ds_read2_b64 v[193:196], v1 offset0:25 offset1:49
	;; [unrolled: 1-line block ×4, first 2 shown]
	ds_read_b64 v[173:174], v177 offset:136
	ds_read2_b64 v[76:79], v68 offset0:41 offset1:65
	ds_read2_b64 v[72:75], v68 offset0:89 offset1:113
	;; [unrolled: 1-line block ×3, first 2 shown]
	s_waitcnt lgkmcnt(7)
	v_mov_b32_e32 v171, v151
	v_mov_b32_e32 v172, v152
	;; [unrolled: 1-line block ×6, first 2 shown]
	s_waitcnt lgkmcnt(6)
	v_mov_b32_e32 v161, v193
	v_mov_b32_e32 v162, v194
	;; [unrolled: 1-line block ×4, first 2 shown]
	s_waitcnt lgkmcnt(5)
	v_mov_b32_e32 v153, v197
	v_mov_b32_e32 v154, v198
	;; [unrolled: 1-line block ×4, first 2 shown]
.LBB0_11:
	s_or_b32 exec_lo, exec_lo, s0
	s_waitcnt lgkmcnt(8)
	v_add_f32_e32 v194, v108, v110
	v_add_f32_e32 v195, v109, v111
	s_waitcnt lgkmcnt(0)
	v_sub_f32_e32 v197, v111, v176
	v_add_f32_e32 v198, v176, v111
	v_add_f32_e32 v196, v175, v110
	;; [unrolled: 1-line block ×4, first 2 shown]
	v_mul_f32_e32 v200, 0xbf2c7751, v197
	v_mul_f32_e32 v201, 0x3f3d2fb0, v198
	;; [unrolled: 1-line block ×3, first 2 shown]
	v_add_f32_e32 v111, v194, v102
	v_add_f32_e32 v194, v195, v103
	v_sub_f32_e32 v195, v110, v175
	v_mul_f32_e32 v110, 0xbeb8f4ab, v197
	v_mul_f32_e32 v203, 0x3ee437d1, v198
	v_add_f32_e32 v111, v111, v92
	v_add_f32_e32 v194, v194, v93
	v_mul_f32_e32 v204, 0xbf7ee86f, v197
	v_fmamk_f32 v207, v196, 0x3f6eb680, v110
	v_fma_f32 v110, 0x3f6eb680, v196, -v110
	v_add_f32_e32 v111, v111, v94
	v_add_f32_e32 v194, v194, v95
	v_mul_f32_e32 v205, 0x3dbcf732, v198
	v_fmamk_f32 v209, v196, 0x3f3d2fb0, v200
	v_add_f32_e32 v215, v108, v110
	v_add_f32_e32 v111, v111, v84
	;; [unrolled: 1-line block ×3, first 2 shown]
	v_fmamk_f32 v210, v195, 0x3f2c7751, v201
	v_fmamk_f32 v211, v196, 0x3ee437d1, v202
	;; [unrolled: 1-line block ×3, first 2 shown]
	v_add_f32_e32 v111, v111, v86
	v_add_f32_e32 v194, v194, v87
	v_fmamk_f32 v213, v196, 0x3dbcf732, v204
	v_fmamk_f32 v214, v195, 0x3f7ee86f, v205
	v_mul_f32_e32 v199, 0x3f6eb680, v198
	v_add_f32_e32 v111, v111, v80
	v_add_f32_e32 v194, v194, v81
	v_mul_f32_e32 v206, 0xbf763a35, v197
	v_mul_f32_e32 v217, 0xbf1a4643, v198
	v_mul_f32_e32 v220, 0xbf06c442, v197
	v_add_f32_e32 v111, v111, v82
	v_add_f32_e32 v194, v194, v83
	v_mul_f32_e32 v221, 0xbf59a7d5, v198
	v_sub_f32_e32 v225, v101, v107
	v_add_f32_e32 v101, v107, v101
	v_add_f32_e32 v111, v111, v88
	;; [unrolled: 1-line block ×3, first 2 shown]
	v_fmamk_f32 v208, v195, 0x3eb8f4ab, v199
	v_fmac_f32_e32 v199, 0xbeb8f4ab, v195
	v_fma_f32 v200, 0x3f3d2fb0, v196, -v200
	v_add_f32_e32 v111, v111, v90
	v_add_f32_e32 v194, v194, v91
	v_fmac_f32_e32 v201, 0xbf2c7751, v195
	v_fma_f32 v202, 0x3ee437d1, v196, -v202
	v_fmac_f32_e32 v203, 0xbf65296c, v195
	v_add_f32_e32 v111, v111, v96
	v_add_f32_e32 v194, v194, v97
	v_fma_f32 v204, 0x3dbcf732, v196, -v204
	v_fmac_f32_e32 v205, 0xbf7ee86f, v195
	v_fmamk_f32 v219, v195, 0x3f4c4adb, v217
	v_add_f32_e32 v110, v111, v98
	v_add_f32_e32 v111, v194, v99
	;; [unrolled: 1-line block ×9, first 2 shown]
	v_mul_f32_e32 v213, 0xbe8c1d8e, v198
	v_add_f32_e32 v110, v110, v106
	v_add_f32_e32 v111, v111, v107
	v_mul_f32_e32 v198, 0xbf7ba420, v198
	v_fmac_f32_e32 v217, 0xbf4c4adb, v195
	v_fmamk_f32 v216, v195, 0x3f763a35, v213
	v_add_f32_e32 v110, v110, v175
	v_add_f32_e32 v111, v111, v176
	;; [unrolled: 1-line block ×3, first 2 shown]
	v_mul_f32_e32 v214, 0xbf4c4adb, v197
	v_mul_f32_e32 v197, 0xbe3c28d5, v197
	v_fmamk_f32 v175, v196, 0xbe8c1d8e, v206
	v_fma_f32 v206, 0xbe8c1d8e, v196, -v206
	v_fmac_f32_e32 v213, 0xbf763a35, v195
	v_fmamk_f32 v218, v196, 0xbf1a4643, v214
	v_fma_f32 v214, 0xbf1a4643, v196, -v214
	v_fmamk_f32 v222, v196, 0xbf59a7d5, v220
	v_fmamk_f32 v223, v195, 0x3f06c442, v221
	v_fma_f32 v220, 0xbf59a7d5, v196, -v220
	v_fmac_f32_e32 v221, 0xbf06c442, v195
	v_fmamk_f32 v224, v196, 0xbf7ba420, v197
	v_fmamk_f32 v226, v195, 0x3e3c28d5, v198
	v_fma_f32 v196, 0xbf7ba420, v196, -v197
	v_add_f32_e32 v107, v106, v100
	v_mul_f32_e32 v197, 0xbf2c7751, v225
	v_fmac_f32_e32 v198, 0xbe3c28d5, v195
	v_sub_f32_e32 v100, v100, v106
	v_mul_f32_e32 v106, 0x3f3d2fb0, v101
	v_add_f32_e32 v207, v108, v207
	v_add_f32_e32 v208, v109, v208
	v_add_f32_e32 v199, v109, v199
	v_add_f32_e32 v200, v108, v200
	v_add_f32_e32 v201, v109, v201
	v_add_f32_e32 v202, v108, v202
	v_add_f32_e32 v203, v109, v203
	v_add_f32_e32 v204, v108, v204
	v_add_f32_e32 v205, v109, v205
	v_add_f32_e32 v175, v108, v175
	v_add_f32_e32 v216, v109, v216
	v_add_f32_e32 v206, v108, v206
	v_add_f32_e32 v213, v109, v213
	v_add_f32_e32 v218, v108, v218
	v_add_f32_e32 v219, v109, v219
	v_add_f32_e32 v214, v108, v214
	v_add_f32_e32 v217, v109, v217
	v_add_f32_e32 v222, v108, v222
	v_add_f32_e32 v223, v109, v223
	v_add_f32_e32 v220, v108, v220
	v_add_f32_e32 v221, v109, v221
	v_add_f32_e32 v224, v108, v224
	v_add_f32_e32 v195, v109, v226
	v_fmamk_f32 v226, v107, 0x3f3d2fb0, v197
	v_add_f32_e32 v108, v108, v196
	v_add_f32_e32 v109, v109, v198
	v_fmamk_f32 v196, v100, 0x3f2c7751, v106
	v_mul_f32_e32 v198, 0xbf7ee86f, v225
	v_fmac_f32_e32 v106, 0xbf2c7751, v100
	v_add_f32_e32 v207, v226, v207
	v_fma_f32 v197, 0x3f3d2fb0, v107, -v197
	v_add_f32_e32 v196, v196, v208
	v_fmamk_f32 v208, v107, 0x3dbcf732, v198
	v_mul_f32_e32 v226, 0x3dbcf732, v101
	v_add_f32_e32 v106, v106, v199
	v_mul_f32_e32 v199, 0xbf4c4adb, v225
	v_add_f32_e32 v197, v197, v215
	v_add_f32_e32 v194, v208, v194
	v_fmamk_f32 v208, v100, 0x3f7ee86f, v226
	v_fma_f32 v198, 0x3dbcf732, v107, -v198
	v_fmac_f32_e32 v226, 0xbf7ee86f, v100
	v_fmamk_f32 v215, v107, 0xbf1a4643, v199
	v_mul_f32_e32 v227, 0xbf1a4643, v101
	v_add_f32_e32 v208, v208, v209
	v_add_f32_e32 v198, v198, v200
	;; [unrolled: 1-line block ×4, first 2 shown]
	v_fmamk_f32 v209, v100, 0x3f4c4adb, v227
	v_mul_f32_e32 v210, 0xbe3c28d5, v225
	v_fma_f32 v199, 0xbf1a4643, v107, -v199
	v_fmac_f32_e32 v227, 0xbf4c4adb, v100
	v_mul_f32_e32 v215, 0xbf7ba420, v101
	v_add_f32_e32 v209, v209, v211
	v_fmamk_f32 v211, v107, 0xbf7ba420, v210
	v_add_f32_e32 v199, v199, v202
	v_add_f32_e32 v202, v227, v203
	v_fmamk_f32 v203, v100, 0x3e3c28d5, v215
	v_mul_f32_e32 v226, 0x3f06c442, v225
	v_add_f32_e32 v211, v211, v212
	v_fma_f32 v210, 0xbf7ba420, v107, -v210
	v_fmac_f32_e32 v215, 0xbe3c28d5, v100
	v_add_f32_e32 v176, v203, v176
	v_fmamk_f32 v203, v107, 0xbf59a7d5, v226
	v_mul_f32_e32 v212, 0xbf59a7d5, v101
	v_add_f32_e32 v204, v210, v204
	v_add_f32_e32 v205, v215, v205
	v_mul_f32_e32 v210, 0x3f763a35, v225
	v_add_f32_e32 v175, v203, v175
	v_fmamk_f32 v203, v100, 0xbf06c442, v212
	v_fma_f32 v215, 0xbf59a7d5, v107, -v226
	v_mul_f32_e32 v227, 0xbe8c1d8e, v101
	v_fmac_f32_e32 v212, 0x3f06c442, v100
	v_fmamk_f32 v226, v107, 0xbe8c1d8e, v210
	v_add_f32_e32 v203, v203, v216
	v_add_f32_e32 v206, v215, v206
	v_fmamk_f32 v215, v100, 0xbf763a35, v227
	v_mul_f32_e32 v216, 0x3f65296c, v225
	v_add_f32_e32 v212, v212, v213
	v_add_f32_e32 v213, v226, v218
	v_fma_f32 v210, 0xbe8c1d8e, v107, -v210
	v_mul_f32_e32 v218, 0x3ee437d1, v101
	v_add_f32_e32 v215, v215, v219
	v_fmamk_f32 v219, v107, 0x3ee437d1, v216
	v_mul_f32_e32 v225, 0x3eb8f4ab, v225
	v_fma_f32 v216, 0x3ee437d1, v107, -v216
	v_add_f32_e32 v210, v210, v214
	v_fmamk_f32 v214, v100, 0xbf65296c, v218
	v_add_f32_e32 v219, v219, v222
	v_fmac_f32_e32 v218, 0x3f65296c, v100
	v_fmamk_f32 v222, v107, 0x3f6eb680, v225
	v_add_f32_e32 v216, v216, v220
	v_sub_f32_e32 v220, v103, v105
	v_add_f32_e32 v214, v214, v223
	v_mul_f32_e32 v101, 0x3f6eb680, v101
	v_add_f32_e32 v218, v218, v221
	v_add_f32_e32 v221, v222, v224
	;; [unrolled: 1-line block ×3, first 2 shown]
	v_mul_f32_e32 v224, 0xbf65296c, v220
	v_add_f32_e32 v103, v105, v103
	v_fmac_f32_e32 v227, 0x3f763a35, v100
	v_fmamk_f32 v222, v100, 0xbeb8f4ab, v101
	v_fma_f32 v105, 0x3f6eb680, v107, -v225
	v_fmac_f32_e32 v101, 0x3eb8f4ab, v100
	v_sub_f32_e32 v100, v102, v104
	v_fmamk_f32 v102, v223, 0x3ee437d1, v224
	v_mul_f32_e32 v104, 0x3ee437d1, v103
	v_add_f32_e32 v107, v222, v195
	v_add_f32_e32 v105, v105, v108
	v_add_f32_e32 v101, v101, v109
	v_add_f32_e32 v102, v102, v207
	v_fmamk_f32 v108, v100, 0x3f65296c, v104
	v_mul_f32_e32 v109, 0xbf4c4adb, v220
	v_fma_f32 v195, 0x3ee437d1, v223, -v224
	v_fmac_f32_e32 v104, 0xbf65296c, v100
	v_mul_f32_e32 v207, 0xbf1a4643, v103
	v_add_f32_e32 v108, v108, v196
	v_fmamk_f32 v196, v223, 0xbf1a4643, v109
	v_add_f32_e32 v195, v195, v197
	v_add_f32_e32 v104, v104, v106
	v_fmamk_f32 v106, v100, 0x3f4c4adb, v207
	v_mul_f32_e32 v197, 0x3e3c28d5, v220
	v_fma_f32 v109, 0xbf1a4643, v223, -v109
	v_fmac_f32_e32 v207, 0xbf4c4adb, v100
	v_add_f32_e32 v194, v196, v194
	v_add_f32_e32 v106, v106, v208
	v_fmamk_f32 v196, v223, 0xbf7ba420, v197
	v_mul_f32_e32 v208, 0xbf7ba420, v103
	v_add_f32_e32 v109, v109, v198
	v_add_f32_e32 v198, v207, v200
	v_mul_f32_e32 v200, 0x3f763a35, v220
	v_add_f32_e32 v196, v196, v201
	v_fmamk_f32 v201, v100, 0xbe3c28d5, v208
	v_fma_f32 v197, 0xbf7ba420, v223, -v197
	v_fmac_f32_e32 v208, 0x3e3c28d5, v100
	v_fmamk_f32 v207, v223, 0xbe8c1d8e, v200
	v_mul_f32_e32 v222, 0xbe8c1d8e, v103
	v_add_f32_e32 v201, v201, v209
	v_add_f32_e32 v197, v197, v199
	v_add_f32_e32 v199, v208, v202
	v_add_f32_e32 v202, v207, v211
	v_fmamk_f32 v207, v100, 0xbf763a35, v222
	v_mul_f32_e32 v208, 0x3f2c7751, v220
	v_fma_f32 v200, 0xbe8c1d8e, v223, -v200
	v_fmac_f32_e32 v222, 0x3f763a35, v100
	v_mul_f32_e32 v209, 0x3f3d2fb0, v103
	v_add_f32_e32 v176, v207, v176
	v_fmamk_f32 v207, v223, 0x3f3d2fb0, v208
	v_add_f32_e32 v200, v200, v204
	v_add_f32_e32 v204, v222, v205
	v_fmamk_f32 v205, v100, 0xbf2c7751, v209
	v_mul_f32_e32 v211, 0xbeb8f4ab, v220
	v_add_f32_e32 v175, v207, v175
	v_fma_f32 v207, 0x3f3d2fb0, v223, -v208
	v_fmac_f32_e32 v209, 0x3f2c7751, v100
	v_add_f32_e32 v203, v205, v203
	v_fmamk_f32 v205, v223, 0x3f6eb680, v211
	v_mul_f32_e32 v208, 0x3f6eb680, v103
	v_add_f32_e32 v206, v207, v206
	v_add_f32_e32 v207, v209, v212
	v_mul_f32_e32 v209, 0xbf7ee86f, v220
	v_add_f32_e32 v205, v205, v213
	v_fma_f32 v211, 0x3f6eb680, v223, -v211
	v_mul_f32_e32 v222, 0x3dbcf732, v103
	v_add_f32_e32 v217, v227, v217
	v_fmamk_f32 v213, v223, 0x3dbcf732, v209
	v_fmamk_f32 v212, v100, 0x3eb8f4ab, v208
	v_fmac_f32_e32 v208, 0xbeb8f4ab, v100
	v_add_f32_e32 v210, v211, v210
	v_mul_f32_e32 v103, 0xbf59a7d5, v103
	v_add_f32_e32 v211, v213, v219
	v_fmamk_f32 v213, v100, 0x3f7ee86f, v222
	v_fma_f32 v209, 0x3dbcf732, v223, -v209
	v_fmac_f32_e32 v222, 0xbf7ee86f, v100
	v_add_f32_e32 v212, v212, v215
	v_add_f32_e32 v208, v208, v217
	v_mul_f32_e32 v215, 0xbf06c442, v220
	v_fmamk_f32 v217, v100, 0x3f06c442, v103
	v_add_f32_e32 v209, v209, v216
	v_add_f32_e32 v216, v222, v218
	v_sub_f32_e32 v218, v93, v99
	v_add_f32_e32 v93, v99, v93
	v_add_f32_e32 v213, v213, v214
	v_fmamk_f32 v214, v223, 0xbf59a7d5, v215
	v_add_f32_e32 v107, v217, v107
	v_add_f32_e32 v217, v98, v92
	v_mul_f32_e32 v99, 0xbf7ee86f, v218
	v_fma_f32 v215, 0xbf59a7d5, v223, -v215
	v_fmac_f32_e32 v103, 0xbf06c442, v100
	v_sub_f32_e32 v92, v92, v98
	v_mul_f32_e32 v98, 0x3dbcf732, v93
	v_fmamk_f32 v100, v217, 0x3dbcf732, v99
	v_add_f32_e32 v105, v215, v105
	v_add_f32_e32 v101, v103, v101
	v_mul_f32_e32 v103, 0xbe3c28d5, v218
	v_fmamk_f32 v215, v92, 0x3f7ee86f, v98
	v_add_f32_e32 v100, v100, v102
	v_fma_f32 v99, 0x3dbcf732, v217, -v99
	v_fmac_f32_e32 v98, 0xbf7ee86f, v92
	v_fmamk_f32 v102, v217, 0xbf7ba420, v103
	v_add_f32_e32 v108, v215, v108
	v_mul_f32_e32 v215, 0xbf7ba420, v93
	v_add_f32_e32 v99, v99, v195
	v_mul_f32_e32 v195, 0xbe8c1d8e, v93
	v_add_f32_e32 v102, v102, v194
	v_add_f32_e32 v98, v98, v104
	v_fmamk_f32 v194, v92, 0x3e3c28d5, v215
	v_mul_f32_e32 v104, 0x3f763a35, v218
	v_fma_f32 v103, 0xbf7ba420, v217, -v103
	v_fmac_f32_e32 v215, 0xbe3c28d5, v92
	v_add_f32_e32 v214, v214, v221
	v_add_f32_e32 v106, v194, v106
	v_fmamk_f32 v194, v92, 0xbf763a35, v195
	v_fmamk_f32 v219, v217, 0xbe8c1d8e, v104
	v_add_f32_e32 v103, v103, v109
	v_add_f32_e32 v109, v215, v198
	v_mul_f32_e32 v198, 0x3eb8f4ab, v218
	v_fma_f32 v104, 0xbe8c1d8e, v217, -v104
	v_fmac_f32_e32 v195, 0x3f763a35, v92
	v_add_f32_e32 v194, v194, v201
	v_mul_f32_e32 v201, 0x3f6eb680, v93
	v_fmamk_f32 v215, v217, 0x3f6eb680, v198
	v_add_f32_e32 v104, v104, v197
	v_add_f32_e32 v195, v195, v199
	v_mul_f32_e32 v197, 0xbf65296c, v218
	v_fmamk_f32 v199, v92, 0xbeb8f4ab, v201
	v_add_f32_e32 v202, v215, v202
	v_fma_f32 v198, 0x3f6eb680, v217, -v198
	v_fmac_f32_e32 v201, 0x3eb8f4ab, v92
	v_fmamk_f32 v215, v217, 0x3ee437d1, v197
	v_add_f32_e32 v176, v199, v176
	v_mul_f32_e32 v199, 0x3ee437d1, v93
	v_add_f32_e32 v198, v198, v200
	v_add_f32_e32 v200, v201, v204
	;; [unrolled: 1-line block ×3, first 2 shown]
	v_mul_f32_e32 v201, 0xbf06c442, v218
	v_fmamk_f32 v204, v92, 0x3f65296c, v199
	v_fma_f32 v197, 0x3ee437d1, v217, -v197
	v_mul_f32_e32 v215, 0xbf59a7d5, v93
	v_add_f32_e32 v196, v219, v196
	v_fmamk_f32 v219, v217, 0xbf59a7d5, v201
	v_add_f32_e32 v203, v204, v203
	v_add_f32_e32 v197, v197, v206
	v_fmamk_f32 v204, v92, 0x3f06c442, v215
	v_mul_f32_e32 v206, 0x3f4c4adb, v218
	v_fma_f32 v201, 0xbf59a7d5, v217, -v201
	v_fmac_f32_e32 v199, 0xbf65296c, v92
	v_fmac_f32_e32 v215, 0xbf06c442, v92
	v_add_f32_e32 v204, v204, v212
	v_fmamk_f32 v212, v217, 0xbf1a4643, v206
	v_add_f32_e32 v201, v201, v210
	v_mul_f32_e32 v210, 0x3f2c7751, v218
	v_add_f32_e32 v199, v199, v207
	v_mul_f32_e32 v207, 0xbf1a4643, v93
	v_add_f32_e32 v211, v212, v211
	v_fma_f32 v206, 0xbf1a4643, v217, -v206
	v_fmamk_f32 v212, v217, 0x3f3d2fb0, v210
	v_add_f32_e32 v208, v215, v208
	v_fmamk_f32 v215, v92, 0xbf4c4adb, v207
	v_mul_f32_e32 v93, 0x3f3d2fb0, v93
	v_add_f32_e32 v206, v206, v209
	v_add_f32_e32 v209, v212, v214
	v_sub_f32_e32 v212, v95, v97
	v_add_f32_e32 v95, v97, v95
	v_fmac_f32_e32 v207, 0x3f4c4adb, v92
	v_add_f32_e32 v213, v215, v213
	v_fmamk_f32 v214, v92, 0xbf2c7751, v93
	v_fma_f32 v210, 0x3f3d2fb0, v217, -v210
	v_add_f32_e32 v97, v96, v94
	v_mul_f32_e32 v215, 0xbf763a35, v212
	v_fmac_f32_e32 v93, 0x3f2c7751, v92
	v_sub_f32_e32 v92, v94, v96
	v_mul_f32_e32 v94, 0xbe8c1d8e, v95
	v_add_f32_e32 v96, v214, v107
	v_fmamk_f32 v107, v97, 0xbe8c1d8e, v215
	v_add_f32_e32 v105, v210, v105
	v_add_f32_e32 v93, v93, v101
	v_fmamk_f32 v101, v92, 0x3f763a35, v94
	v_mul_f32_e32 v210, 0x3f06c442, v212
	v_fmac_f32_e32 v94, 0xbf763a35, v92
	v_add_f32_e32 v100, v107, v100
	v_fma_f32 v107, 0xbe8c1d8e, v97, -v215
	v_add_f32_e32 v101, v101, v108
	v_fmamk_f32 v108, v97, 0xbf59a7d5, v210
	v_mul_f32_e32 v214, 0xbf59a7d5, v95
	v_add_f32_e32 v94, v94, v98
	v_mul_f32_e32 v98, 0x3f2c7751, v212
	v_add_f32_e32 v99, v107, v99
	v_add_f32_e32 v102, v108, v102
	v_fmamk_f32 v107, v92, 0xbf06c442, v214
	v_fma_f32 v108, 0xbf59a7d5, v97, -v210
	v_fmac_f32_e32 v214, 0x3f06c442, v92
	v_fmamk_f32 v210, v97, 0x3f3d2fb0, v98
	v_mul_f32_e32 v215, 0x3f3d2fb0, v95
	v_add_f32_e32 v106, v107, v106
	v_add_f32_e32 v103, v108, v103
	;; [unrolled: 1-line block ×4, first 2 shown]
	v_fmamk_f32 v109, v92, 0xbf2c7751, v215
	v_mul_f32_e32 v196, 0xbf65296c, v212
	v_fma_f32 v98, 0x3f3d2fb0, v97, -v98
	v_fmac_f32_e32 v215, 0x3f2c7751, v92
	v_mul_f32_e32 v210, 0x3ee437d1, v95
	v_add_f32_e32 v109, v109, v194
	v_fmamk_f32 v194, v97, 0x3ee437d1, v196
	v_add_f32_e32 v98, v98, v104
	v_add_f32_e32 v104, v215, v195
	v_fmamk_f32 v195, v92, 0x3f65296c, v210
	v_mul_f32_e32 v214, 0xbe3c28d5, v212
	v_fma_f32 v196, 0x3ee437d1, v97, -v196
	v_fmac_f32_e32 v210, 0xbf65296c, v92
	v_add_f32_e32 v194, v194, v202
	v_add_f32_e32 v176, v195, v176
	v_fmamk_f32 v195, v97, 0xbf7ba420, v214
	v_mul_f32_e32 v202, 0xbf7ba420, v95
	v_add_f32_e32 v196, v196, v198
	v_add_f32_e32 v198, v210, v200
	v_mul_f32_e32 v200, 0x3f7ee86f, v212
	v_add_f32_e32 v205, v219, v205
	v_add_f32_e32 v175, v195, v175
	v_fmamk_f32 v195, v92, 0x3e3c28d5, v202
	v_fma_f32 v210, 0xbf7ba420, v97, -v214
	v_fmac_f32_e32 v202, 0xbe3c28d5, v92
	v_fmamk_f32 v214, v97, 0x3dbcf732, v200
	v_mul_f32_e32 v215, 0x3dbcf732, v95
	v_add_f32_e32 v195, v195, v203
	v_add_f32_e32 v197, v210, v197
	;; [unrolled: 1-line block ×4, first 2 shown]
	v_fmamk_f32 v203, v92, 0xbf7ee86f, v215
	v_mul_f32_e32 v205, 0xbeb8f4ab, v212
	v_fma_f32 v200, 0x3dbcf732, v97, -v200
	v_mul_f32_e32 v210, 0x3f6eb680, v95
	v_mul_f32_e32 v212, 0xbf4c4adb, v212
	v_add_f32_e32 v203, v203, v204
	v_fmamk_f32 v204, v97, 0x3f6eb680, v205
	v_fma_f32 v205, 0x3f6eb680, v97, -v205
	v_add_f32_e32 v200, v200, v201
	v_fmamk_f32 v201, v92, 0x3eb8f4ab, v210
	v_add_f32_e32 v207, v207, v216
	v_add_f32_e32 v204, v204, v211
	v_fmamk_f32 v211, v97, 0xbf1a4643, v212
	v_add_f32_e32 v205, v205, v206
	v_sub_f32_e32 v206, v85, v91
	v_add_f32_e32 v201, v201, v213
	v_fmac_f32_e32 v210, 0xbeb8f4ab, v92
	v_mul_f32_e32 v95, 0xbf1a4643, v95
	v_add_f32_e32 v209, v211, v209
	v_add_f32_e32 v211, v90, v84
	v_mul_f32_e32 v213, 0xbf4c4adb, v206
	v_add_f32_e32 v85, v91, v85
	v_fmac_f32_e32 v215, 0x3f7ee86f, v92
	v_add_f32_e32 v207, v210, v207
	v_fmamk_f32 v210, v92, 0x3f4c4adb, v95
	v_fma_f32 v91, 0xbf1a4643, v97, -v212
	v_fmac_f32_e32 v95, 0xbf4c4adb, v92
	v_sub_f32_e32 v84, v84, v90
	v_fmamk_f32 v90, v211, 0xbf1a4643, v213
	v_mul_f32_e32 v92, 0xbf1a4643, v85
	v_add_f32_e32 v91, v91, v105
	v_add_f32_e32 v93, v95, v93
	v_mul_f32_e32 v97, 0x3f763a35, v206
	v_add_f32_e32 v90, v90, v100
	v_fmamk_f32 v95, v84, 0x3f4c4adb, v92
	v_fma_f32 v100, 0xbf1a4643, v211, -v213
	v_fmac_f32_e32 v92, 0xbf4c4adb, v84
	v_mul_f32_e32 v105, 0xbe8c1d8e, v85
	v_add_f32_e32 v96, v210, v96
	v_add_f32_e32 v95, v95, v101
	v_fmamk_f32 v101, v211, 0xbe8c1d8e, v97
	v_add_f32_e32 v99, v100, v99
	v_add_f32_e32 v92, v92, v94
	v_fmamk_f32 v94, v84, 0xbf763a35, v105
	v_mul_f32_e32 v100, 0xbeb8f4ab, v206
	v_fma_f32 v97, 0xbe8c1d8e, v211, -v97
	v_fmac_f32_e32 v105, 0x3f763a35, v84
	v_add_f32_e32 v101, v101, v102
	v_add_f32_e32 v94, v94, v106
	v_fmamk_f32 v102, v211, 0x3f6eb680, v100
	v_mul_f32_e32 v106, 0x3f6eb680, v85
	v_add_f32_e32 v97, v97, v103
	v_add_f32_e32 v103, v105, v107
	v_mul_f32_e32 v105, 0xbf06c442, v206
	v_add_f32_e32 v102, v102, v108
	v_fmamk_f32 v107, v84, 0x3eb8f4ab, v106
	v_fma_f32 v100, 0x3f6eb680, v211, -v100
	v_fmac_f32_e32 v106, 0xbeb8f4ab, v84
	v_fmamk_f32 v108, v211, 0xbf59a7d5, v105
	v_mul_f32_e32 v210, 0xbf59a7d5, v85
	v_add_f32_e32 v107, v107, v109
	v_add_f32_e32 v98, v100, v98
	;; [unrolled: 1-line block ×4, first 2 shown]
	v_fmamk_f32 v106, v84, 0x3f06c442, v210
	v_mul_f32_e32 v108, 0x3f7ee86f, v206
	v_fma_f32 v105, 0xbf59a7d5, v211, -v105
	v_fmac_f32_e32 v210, 0xbf06c442, v84
	v_mul_f32_e32 v109, 0x3dbcf732, v85
	v_add_f32_e32 v106, v106, v176
	v_fmamk_f32 v176, v211, 0x3dbcf732, v108
	v_add_f32_e32 v105, v105, v196
	v_add_f32_e32 v194, v210, v198
	v_fmamk_f32 v196, v84, 0xbf7ee86f, v109
	v_mul_f32_e32 v198, 0xbf2c7751, v206
	v_fma_f32 v108, 0x3dbcf732, v211, -v108
	v_add_f32_e32 v175, v176, v175
	v_fmac_f32_e32 v109, 0x3f7ee86f, v84
	v_add_f32_e32 v176, v196, v195
	v_fmamk_f32 v195, v211, 0x3f3d2fb0, v198
	v_mul_f32_e32 v196, 0x3f3d2fb0, v85
	v_add_f32_e32 v108, v108, v197
	v_mul_f32_e32 v197, 0xbe3c28d5, v206
	v_add_f32_e32 v109, v109, v199
	v_add_f32_e32 v195, v195, v202
	v_fmamk_f32 v199, v84, 0x3f2c7751, v196
	v_fma_f32 v198, 0x3f3d2fb0, v211, -v198
	v_fmamk_f32 v202, v211, 0xbf7ba420, v197
	v_mul_f32_e32 v210, 0xbf7ba420, v85
	v_mul_f32_e32 v85, 0x3ee437d1, v85
	v_add_f32_e32 v199, v199, v203
	v_add_f32_e32 v198, v198, v200
	;; [unrolled: 1-line block ×3, first 2 shown]
	v_fmamk_f32 v202, v84, 0x3e3c28d5, v210
	v_mul_f32_e32 v203, 0x3f65296c, v206
	v_fmamk_f32 v204, v84, 0xbf65296c, v85
	v_sub_f32_e32 v206, v87, v89
	v_add_f32_e32 v87, v89, v87
	v_fmac_f32_e32 v196, 0xbf2c7751, v84
	v_fmac_f32_e32 v210, 0xbe3c28d5, v84
	v_add_f32_e32 v201, v202, v201
	v_fmamk_f32 v202, v211, 0x3ee437d1, v203
	v_add_f32_e32 v96, v204, v96
	v_add_f32_e32 v204, v88, v86
	v_mul_f32_e32 v89, 0xbf06c442, v206
	v_fma_f32 v203, 0x3ee437d1, v211, -v203
	v_fmac_f32_e32 v85, 0x3f65296c, v84
	v_sub_f32_e32 v84, v86, v88
	v_mul_f32_e32 v86, 0xbf59a7d5, v87
	v_fmamk_f32 v88, v204, 0xbf59a7d5, v89
	v_add_f32_e32 v91, v203, v91
	v_add_f32_e32 v85, v85, v93
	v_mul_f32_e32 v93, 0x3f65296c, v206
	v_fmamk_f32 v203, v84, 0x3f06c442, v86
	v_add_f32_e32 v88, v88, v90
	v_fma_f32 v89, 0xbf59a7d5, v204, -v89
	v_fmac_f32_e32 v86, 0xbf06c442, v84
	v_fmamk_f32 v90, v204, 0x3ee437d1, v93
	v_add_f32_e32 v95, v203, v95
	v_mul_f32_e32 v203, 0x3ee437d1, v87
	v_add_f32_e32 v89, v89, v99
	v_fma_f32 v197, 0xbf7ba420, v211, -v197
	v_add_f32_e32 v90, v90, v101
	v_mul_f32_e32 v101, 0x3dbcf732, v87
	v_fmamk_f32 v99, v84, 0xbf65296c, v203
	v_add_f32_e32 v86, v86, v92
	v_mul_f32_e32 v92, 0xbf7ee86f, v206
	v_fma_f32 v93, 0x3ee437d1, v204, -v93
	v_fmac_f32_e32 v203, 0x3f65296c, v84
	v_add_f32_e32 v94, v99, v94
	v_fmamk_f32 v99, v84, 0x3f7ee86f, v101
	v_add_f32_e32 v197, v197, v205
	v_add_f32_e32 v205, v210, v207
	v_fmamk_f32 v207, v204, 0x3dbcf732, v92
	v_add_f32_e32 v93, v93, v97
	v_add_f32_e32 v97, v203, v103
	v_mul_f32_e32 v103, 0x3f4c4adb, v206
	v_fma_f32 v92, 0x3dbcf732, v204, -v92
	v_fmac_f32_e32 v101, 0xbf7ee86f, v84
	v_add_f32_e32 v99, v99, v107
	v_mul_f32_e32 v107, 0xbf1a4643, v87
	v_fmamk_f32 v203, v204, 0xbf1a4643, v103
	v_add_f32_e32 v92, v92, v98
	v_add_f32_e32 v98, v101, v100
	v_mul_f32_e32 v100, 0xbeb8f4ab, v206
	v_fmamk_f32 v101, v84, 0xbf4c4adb, v107
	v_add_f32_e32 v104, v203, v104
	v_fma_f32 v103, 0xbf1a4643, v204, -v103
	v_fmac_f32_e32 v107, 0x3f4c4adb, v84
	v_fmamk_f32 v203, v204, 0x3f6eb680, v100
	v_add_f32_e32 v101, v101, v106
	v_mul_f32_e32 v106, 0x3f6eb680, v87
	v_add_f32_e32 v103, v103, v105
	v_add_f32_e32 v105, v107, v194
	;; [unrolled: 1-line block ×3, first 2 shown]
	v_mul_f32_e32 v175, 0xbe3c28d5, v206
	v_fmamk_f32 v194, v84, 0x3eb8f4ab, v106
	v_fma_f32 v100, 0x3f6eb680, v204, -v100
	v_mul_f32_e32 v203, 0xbf7ba420, v87
	v_add_f32_e32 v208, v215, v208
	v_add_f32_e32 v102, v207, v102
	v_fmac_f32_e32 v106, 0xbeb8f4ab, v84
	v_fmamk_f32 v207, v204, 0xbf7ba420, v175
	v_add_f32_e32 v176, v194, v176
	v_add_f32_e32 v100, v100, v108
	v_fmamk_f32 v108, v84, 0x3e3c28d5, v203
	v_mul_f32_e32 v194, 0x3f2c7751, v206
	v_fma_f32 v175, 0xbf7ba420, v204, -v175
	v_add_f32_e32 v196, v196, v208
	v_add_f32_e32 v106, v106, v109
	;; [unrolled: 1-line block ×3, first 2 shown]
	v_fmac_f32_e32 v203, 0xbe3c28d5, v84
	v_add_f32_e32 v108, v108, v199
	v_mul_f32_e32 v195, 0x3f3d2fb0, v87
	v_fmamk_f32 v199, v204, 0x3f3d2fb0, v194
	v_add_f32_e32 v175, v175, v198
	v_mul_f32_e32 v198, 0xbf763a35, v206
	v_add_f32_e32 v202, v202, v209
	v_add_f32_e32 v196, v203, v196
	v_fmamk_f32 v203, v84, 0xbf2c7751, v195
	v_add_f32_e32 v199, v199, v200
	v_fma_f32 v194, 0x3f3d2fb0, v204, -v194
	v_fmamk_f32 v200, v204, 0xbe8c1d8e, v198
	v_fmac_f32_e32 v195, 0x3f2c7751, v84
	v_add_f32_e32 v201, v203, v201
	v_mul_f32_e32 v87, 0xbe8c1d8e, v87
	v_add_f32_e32 v194, v194, v197
	v_add_f32_e32 v197, v200, v202
	v_sub_f32_e32 v200, v81, v83
	v_add_f32_e32 v203, v83, v81
	v_add_f32_e32 v195, v195, v205
	v_fmamk_f32 v202, v84, 0x3f763a35, v87
	v_fma_f32 v198, 0xbe8c1d8e, v204, -v198
	v_add_f32_e32 v204, v82, v80
	v_mul_f32_e32 v81, 0xbe3c28d5, v200
	v_fmac_f32_e32 v87, 0xbf763a35, v84
	v_sub_f32_e32 v205, v80, v82
	v_mul_f32_e32 v83, 0xbf7ba420, v203
	v_add_f32_e32 v198, v198, v91
	v_fmamk_f32 v80, v204, 0xbf7ba420, v81
	v_add_f32_e32 v206, v87, v85
	v_mul_f32_e32 v85, 0x3eb8f4ab, v200
	v_fmamk_f32 v82, v205, 0x3e3c28d5, v83
	v_fma_f32 v84, 0xbf7ba420, v204, -v81
	v_add_f32_e32 v80, v80, v88
	v_fmac_f32_e32 v83, 0xbe3c28d5, v205
	v_fmamk_f32 v87, v204, 0x3f6eb680, v85
	v_add_f32_e32 v81, v82, v95
	v_mul_f32_e32 v88, 0x3f6eb680, v203
	v_add_f32_e32 v82, v84, v89
	v_mul_f32_e32 v89, 0xbf06c442, v200
	v_add_f32_e32 v83, v83, v86
	v_add_f32_e32 v84, v87, v90
	v_fmamk_f32 v86, v205, 0xbeb8f4ab, v88
	v_fma_f32 v87, 0x3f6eb680, v204, -v85
	v_fmac_f32_e32 v88, 0x3eb8f4ab, v205
	v_fmamk_f32 v90, v204, 0xbf59a7d5, v89
	v_mul_f32_e32 v91, 0xbf59a7d5, v203
	v_add_f32_e32 v85, v86, v94
	v_add_f32_e32 v86, v87, v93
	;; [unrolled: 1-line block ×4, first 2 shown]
	v_fmamk_f32 v90, v205, 0x3f06c442, v91
	v_mul_f32_e32 v93, 0x3f2c7751, v200
	v_fma_f32 v94, 0xbf59a7d5, v204, -v89
	v_mul_f32_e32 v95, 0x3f3d2fb0, v203
	v_add_f32_e32 v202, v202, v96
	v_fmac_f32_e32 v91, 0xbf06c442, v205
	v_add_f32_e32 v89, v90, v99
	v_fmamk_f32 v96, v204, 0x3f3d2fb0, v93
	v_add_f32_e32 v90, v94, v92
	v_fmamk_f32 v94, v205, 0xbf2c7751, v95
	v_mul_f32_e32 v97, 0xbf4c4adb, v200
	v_add_f32_e32 v91, v91, v98
	v_add_f32_e32 v92, v96, v104
	v_fma_f32 v96, 0x3f3d2fb0, v204, -v93
	v_add_f32_e32 v93, v94, v101
	v_fmamk_f32 v98, v204, 0xbf1a4643, v97
	v_mul_f32_e32 v99, 0xbf1a4643, v203
	v_mul_f32_e32 v101, 0x3f65296c, v200
	v_fmac_f32_e32 v95, 0x3f2c7751, v205
	v_add_f32_e32 v94, v96, v103
	v_add_f32_e32 v96, v98, v107
	v_fmamk_f32 v98, v205, 0x3f4c4adb, v99
	v_fma_f32 v102, 0xbf1a4643, v204, -v97
	v_fmamk_f32 v103, v204, 0x3ee437d1, v101
	v_mul_f32_e32 v104, 0x3ee437d1, v203
	v_add_f32_e32 v95, v95, v105
	v_fmac_f32_e32 v99, 0xbf4c4adb, v205
	v_add_f32_e32 v97, v98, v176
	v_add_f32_e32 v98, v102, v100
	;; [unrolled: 1-line block ×3, first 2 shown]
	v_fmamk_f32 v102, v205, 0xbf65296c, v104
	v_mul_f32_e32 v105, 0xbf763a35, v200
	v_fma_f32 v103, 0x3ee437d1, v204, -v101
	v_mul_f32_e32 v107, 0xbe8c1d8e, v203
	v_add_f32_e32 v99, v99, v106
	v_fmac_f32_e32 v104, 0x3f65296c, v205
	v_add_f32_e32 v101, v102, v108
	v_fmamk_f32 v106, v204, 0xbe8c1d8e, v105
	v_add_f32_e32 v102, v103, v175
	v_fmamk_f32 v108, v205, 0x3f763a35, v107
	v_fma_f32 v109, 0xbe8c1d8e, v204, -v105
	v_mul_f32_e32 v175, 0x3f7ee86f, v200
	v_mul_f32_e32 v176, 0x3dbcf732, v203
	v_add_f32_e32 v103, v104, v196
	v_add_f32_e32 v104, v106, v199
	;; [unrolled: 1-line block ×4, first 2 shown]
	v_fmamk_f32 v108, v204, 0x3dbcf732, v175
	v_fmamk_f32 v109, v205, 0xbf7ee86f, v176
	v_fma_f32 v175, 0x3dbcf732, v204, -v175
	v_fmac_f32_e32 v176, 0x3f7ee86f, v205
	v_add_nc_u32_e32 v186, 0x88, v192
	v_add_nc_u32_e32 v131, 0x110, v192
	v_fmac_f32_e32 v107, 0xbf763a35, v205
	v_add_f32_e32 v108, v108, v197
	v_add_f32_e32 v109, v109, v202
	v_add_f32_e32 v175, v175, v198
	v_add_f32_e32 v176, v176, v206
	v_add_f32_e32 v107, v107, v195
	s_barrier
	buffer_gl0_inv
	ds_write2_b64 v191, v[110:111], v[80:81] offset1:1
	ds_write2_b64 v191, v[84:85], v[88:89] offset0:2 offset1:3
	ds_write2_b64 v191, v[92:93], v[96:97] offset0:4 offset1:5
	ds_write2_b64 v191, v[100:101], v[104:105] offset0:6 offset1:7
	ds_write2_b64 v191, v[108:109], v[175:176] offset0:8 offset1:9
	ds_write2_b64 v191, v[106:107], v[102:103] offset0:10 offset1:11
	ds_write2_b64 v191, v[98:99], v[94:95] offset0:12 offset1:13
	ds_write2_b64 v191, v[90:91], v[86:87] offset0:14 offset1:15
	ds_write_b64 v191, v[82:83] offset:128
	s_and_saveexec_b32 s0, vcc_lo
	s_cbranch_execz .LBB0_13
; %bb.12:
	v_add_f32_e32 v82, v77, v174
	v_add_f32_e32 v83, v76, v173
	;; [unrolled: 1-line block ×3, first 2 shown]
	v_sub_f32_e32 v89, v76, v2
	v_add_f32_e32 v95, v2, v76
	v_add_f32_e32 v84, v79, v82
	;; [unrolled: 1-line block ×3, first 2 shown]
	v_sub_f32_e32 v197, v77, v3
	v_add_f32_e32 v82, v152, v73
	v_sub_f32_e32 v198, v73, v152
	v_add_f32_e32 v84, v73, v84
	v_add_f32_e32 v88, v72, v88
	v_sub_f32_e32 v85, v72, v151
	v_add_f32_e32 v93, v151, v72
	v_add_f32_e32 v83, v156, v69
	;; [unrolled: 1-line block ×4, first 2 shown]
	v_sub_f32_e32 v224, v69, v156
	v_sub_f32_e32 v84, v68, v155
	v_add_f32_e32 v92, v155, v68
	v_add_f32_e32 v77, v69, v90
	;; [unrolled: 1-line block ×4, first 2 shown]
	v_mul_f32_e32 v237, 0xbf7ba420, v80
	v_sub_f32_e32 v87, v78, v0
	v_add_f32_e32 v76, v71, v77
	v_add_f32_e32 v72, v70, v73
	v_sub_f32_e32 v88, v70, v161
	v_add_f32_e32 v90, v161, v70
	v_mul_f32_e32 v238, 0x3f6eb680, v81
	v_add_f32_e32 v73, v160, v76
	v_add_f32_e32 v69, v159, v72
	v_fmamk_f32 v70, v89, 0x3e3c28d5, v237
	v_add_f32_e32 v109, v154, v75
	v_add_f32_e32 v210, v162, v71
	;; [unrolled: 1-line block ×4, first 2 shown]
	v_sub_f32_e32 v232, v71, v162
	v_mul_f32_e32 v239, 0xbf59a7d5, v82
	v_fmamk_f32 v71, v87, 0xbeb8f4ab, v238
	v_add_f32_e32 v69, v172, v72
	v_add_f32_e32 v68, v171, v68
	;; [unrolled: 1-line block ×3, first 2 shown]
	v_sub_f32_e32 v86, v74, v153
	v_sub_f32_e32 v209, v79, v1
	v_add_f32_e32 v69, v168, v69
	v_add_f32_e32 v68, v167, v68
	v_mul_f32_e32 v240, 0x3f3d2fb0, v109
	v_mul_f32_e32 v243, 0xbe3c28d5, v197
	v_fmamk_f32 v72, v85, 0x3f06c442, v239
	v_add_f32_e32 v69, v162, v69
	v_add_f32_e32 v68, v161, v68
	;; [unrolled: 1-line block ×4, first 2 shown]
	v_mul_f32_e32 v241, 0xbf1a4643, v83
	v_add_f32_e32 v69, v156, v69
	v_add_f32_e32 v68, v155, v68
	v_mul_f32_e32 v244, 0x3eb8f4ab, v209
	v_fmamk_f32 v71, v86, 0xbf2c7751, v240
	v_add_f32_e32 v70, v72, v70
	v_add_f32_e32 v69, v154, v69
	;; [unrolled: 1-line block ×3, first 2 shown]
	v_fmamk_f32 v72, v95, 0xbf7ba420, v243
	v_sub_f32_e32 v220, v75, v154
	v_mul_f32_e32 v242, 0x3ee437d1, v210
	v_add_f32_e32 v69, v152, v69
	v_mul_f32_e32 v245, 0xbf06c442, v198
	v_fmamk_f32 v73, v84, 0x3f4c4adb, v241
	v_add_f32_e32 v68, v151, v68
	v_add_f32_e32 v70, v71, v70
	;; [unrolled: 1-line block ×3, first 2 shown]
	v_fmamk_f32 v69, v94, 0x3f6eb680, v244
	v_add_f32_e32 v71, v173, v72
	v_add_f32_e32 v91, v153, v74
	;; [unrolled: 1-line block ×4, first 2 shown]
	v_fmamk_f32 v3, v88, 0xbf65296c, v242
	v_add_f32_e32 v68, v73, v70
	v_add_f32_e32 v69, v69, v71
	v_fmamk_f32 v70, v93, 0xbf59a7d5, v245
	v_mul_f32_e32 v246, 0x3f2c7751, v220
	v_add_f32_e32 v0, v2, v0
	v_add_f32_e32 v161, v168, v160
	v_add_f32_e32 v2, v3, v68
	v_add_f32_e32 v3, v70, v69
	v_fmamk_f32 v68, v91, 0x3f3d2fb0, v246
	v_mul_f32_e32 v247, 0xbf4c4adb, v224
	v_mul_f32_e32 v248, 0xbe8c1d8e, v161
	v_sub_f32_e32 v96, v159, v167
	v_sub_f32_e32 v160, v160, v168
	v_add_f32_e32 v3, v68, v3
	v_fmamk_f32 v68, v92, 0xbf1a4643, v247
	v_mul_f32_e32 v249, 0x3f65296c, v232
	v_add_f32_e32 v250, v172, v170
	v_add_f32_e32 v98, v167, v159
	v_sub_f32_e32 v97, v169, v171
	v_add_f32_e32 v3, v68, v3
	v_fmamk_f32 v68, v90, 0x3ee437d1, v249
	v_mul_f32_e32 v251, 0xbf763a35, v160
	v_fmamk_f32 v69, v96, 0x3f763a35, v248
	v_mul_f32_e32 v252, 0x3dbcf732, v250
	buffer_store_dword v0, off, s[20:23], 0 offset:72 ; 4-byte Folded Spill
	buffer_store_dword v1, off, s[20:23], 0 offset:76 ; 4-byte Folded Spill
	v_mov_b32_e32 v0, v165
	v_mov_b32_e32 v1, v166
	;; [unrolled: 1-line block ×3, first 2 shown]
	v_add_f32_e32 v3, v68, v3
	v_fmamk_f32 v68, v98, 0xbe8c1d8e, v251
	v_add_f32_e32 v2, v69, v2
	v_fmamk_f32 v69, v97, 0xbf7ee86f, v252
	v_mul_f32_e32 v254, 0xbf59a7d5, v80
	v_mov_b32_e32 v166, v185
	v_mul_f32_e32 v184, 0xbf06c442, v197
	buffer_store_dword v163, off, s[20:23], 0 offset:48 ; 4-byte Folded Spill
	buffer_store_dword v164, off, s[20:23], 0 offset:52 ; 4-byte Folded Spill
	v_mov_b32_e32 v164, v147
	v_mov_b32_e32 v163, v146
	v_mov_b32_e32 v146, v180
	v_add_f32_e32 v68, v68, v3
	v_add_f32_e32 v3, v69, v2
	v_fmamk_f32 v2, v89, 0x3f06c442, v254
	v_mov_b32_e32 v147, v181
	v_mul_f32_e32 v180, 0x3ee437d1, v81
	v_fmamk_f32 v70, v95, 0xbf59a7d5, v184
	v_mul_f32_e32 v181, 0x3f65296c, v209
	v_mov_b32_e32 v202, v140
	v_mov_b32_e32 v204, v142
	;; [unrolled: 1-line block ×8, first 2 shown]
	buffer_store_dword v124, off, s[20:23], 0 offset:32 ; 4-byte Folded Spill
	v_mov_b32_e32 v123, v178
	v_add_f32_e32 v2, v174, v2
	v_fmamk_f32 v71, v87, 0xbf65296c, v180
	v_mov_b32_e32 v124, v179
	v_mul_f32_e32 v178, 0x3dbcf732, v82
	v_add_f32_e32 v70, v173, v70
	v_fmamk_f32 v72, v94, 0x3ee437d1, v181
	v_mul_f32_e32 v179, 0xbf7ee86f, v198
	v_sub_f32_e32 v253, v170, v172
	v_add_f32_e32 v2, v71, v2
	v_fmamk_f32 v71, v85, 0x3f7ee86f, v178
	v_mul_f32_e32 v185, 0xbf1a4643, v109
	v_add_f32_e32 v70, v72, v70
	v_fmamk_f32 v72, v93, 0x3dbcf732, v179
	buffer_store_dword v186, off, s[20:23], 0 offset:68 ; 4-byte Folded Spill
	v_mul_f32_e32 v186, 0x3f4c4adb, v220
	v_add_f32_e32 v99, v171, v169
	v_mul_f32_e32 v255, 0x3f7ee86f, v253
	v_add_f32_e32 v2, v71, v2
	v_fmamk_f32 v71, v86, 0xbf4c4adb, v185
	v_mul_f32_e32 v187, 0x3f6eb680, v83
	v_add_f32_e32 v70, v72, v70
	v_fmamk_f32 v72, v91, 0xbf1a4643, v186
	v_mul_f32_e32 v188, 0xbeb8f4ab, v224
	v_fmamk_f32 v69, v99, 0x3dbcf732, v255
	v_add_f32_e32 v2, v71, v2
	v_fmamk_f32 v71, v84, 0x3eb8f4ab, v187
	v_mul_f32_e32 v189, 0xbf7ba420, v210
	v_add_f32_e32 v70, v72, v70
	v_fmamk_f32 v72, v92, 0x3f6eb680, v188
	v_mul_f32_e32 v190, 0xbe3c28d5, v232
	buffer_store_dword v182, off, s[20:23], 0 offset:56 ; 4-byte Folded Spill
	buffer_store_dword v183, off, s[20:23], 0 offset:60 ; 4-byte Folded Spill
	v_add_f32_e32 v71, v71, v2
	v_fmamk_f32 v73, v88, 0x3e3c28d5, v189
	v_mul_f32_e32 v183, 0x3f3d2fb0, v161
	v_add_f32_e32 v70, v72, v70
	v_fmamk_f32 v72, v90, 0xbf7ba420, v190
	v_mul_f32_e32 v192, 0x3f2c7751, v160
	v_add_f32_e32 v2, v69, v68
	buffer_store_dword v2, off, s[20:23], 0 offset:80 ; 4-byte Folded Spill
	buffer_store_dword v3, off, s[20:23], 0 offset:84 ; 4-byte Folded Spill
	v_add_f32_e32 v68, v73, v71
	v_fmamk_f32 v69, v96, 0xbf2c7751, v183
	v_add_f32_e32 v70, v72, v70
	v_fmamk_f32 v71, v98, 0x3f3d2fb0, v192
	v_mul_f32_e32 v193, 0xbe8c1d8e, v250
	buffer_store_dword v116, off, s[20:23], 0 offset:96 ; 4-byte Folded Spill
	v_mul_f32_e32 v116, 0xbf763a35, v253
	v_add_f32_e32 v68, v69, v68
	v_add_f32_e32 v70, v71, v70
	v_fmamk_f32 v69, v97, 0x3f763a35, v193
	v_mul_f32_e32 v118, 0xbe8c1d8e, v81
	v_fmamk_f32 v71, v99, 0xbe8c1d8e, v116
	v_mul_f32_e32 v120, 0xbf59a7d5, v109
	v_mul_f32_e32 v121, 0x3dbcf732, v83
	v_add_f32_e32 v3, v69, v68
	v_mul_f32_e32 v122, 0x3f3d2fb0, v210
	v_add_f32_e32 v2, v71, v70
	buffer_store_dword v2, off, s[20:23], 0 offset:88 ; 4-byte Folded Spill
	buffer_store_dword v3, off, s[20:23], 0 offset:92 ; 4-byte Folded Spill
	;; [unrolled: 1-line block ×3, first 2 shown]
	v_mul_f32_e32 v117, 0xbf1a4643, v80
	v_fmamk_f32 v71, v87, 0xbf763a35, v118
	buffer_store_dword v143, off, s[20:23], 0 offset:28 ; 4-byte Folded Spill
	v_mov_b32_e32 v143, v119
	v_mul_f32_e32 v119, 0x3f6eb680, v82
	v_fmamk_f32 v70, v89, 0x3f4c4adb, v117
	v_mul_f32_e32 v68, 0xbf4c4adb, v197
	v_mov_b32_e32 v106, v148
	v_mov_b32_e32 v107, v149
	;; [unrolled: 1-line block ×3, first 2 shown]
	v_add_f32_e32 v70, v174, v70
	v_mov_b32_e32 v148, v125
	v_mul_f32_e32 v125, 0x3f763a35, v209
	v_mul_f32_e32 v126, 0xbf7ba420, v161
	buffer_store_dword v150, off, s[20:23], 0 offset:36 ; 4-byte Folded Spill
	v_add_f32_e32 v70, v71, v70
	v_fmamk_f32 v71, v85, 0x3eb8f4ab, v119
	v_fmamk_f32 v72, v94, 0xbe8c1d8e, v125
	v_mul_f32_e32 v150, 0xbeb8f4ab, v198
	v_mul_f32_e32 v69, 0xbf06c442, v220
	;; [unrolled: 1-line block ×3, first 2 shown]
	v_add_f32_e32 v70, v71, v70
	v_fmamk_f32 v71, v86, 0x3f06c442, v120
	buffer_store_dword v131, off, s[20:23], 0 offset:64 ; 4-byte Folded Spill
	v_mul_f32_e32 v131, 0xbf2c7751, v232
	v_mul_f32_e32 v156, 0xbe3c28d5, v160
	v_mov_b32_e32 v168, v133
	v_add_f32_e32 v70, v71, v70
	v_fmamk_f32 v71, v84, 0xbf7ee86f, v121
	v_mov_b32_e32 v167, v132
	v_mul_f32_e32 v132, 0x3ee437d1, v250
	v_mul_f32_e32 v133, 0x3f65296c, v253
	v_mov_b32_e32 v102, v144
	v_add_f32_e32 v70, v71, v70
	v_fmamk_f32 v71, v88, 0x3f2c7751, v122
	v_mov_b32_e32 v103, v145
	v_mov_b32_e32 v145, v113
	;; [unrolled: 1-line block ×4, first 2 shown]
	v_add_f32_e32 v70, v71, v70
	v_fmamk_f32 v71, v95, 0xbf1a4643, v68
	v_mov_b32_e32 v113, v135
	v_mul_f32_e32 v134, 0xbe8c1d8e, v80
	v_mul_f32_e32 v135, 0xbf59a7d5, v81
	;; [unrolled: 1-line block ×3, first 2 shown]
	v_add_f32_e32 v71, v173, v71
	v_mul_f32_e32 v142, 0x3f6eb680, v161
	v_mul_f32_e32 v236, 0x3f2c7751, v198
	v_fmamk_f32 v73, v87, 0xbf06c442, v135
	v_mul_f32_e32 v235, 0xbf65296c, v220
	v_add_f32_e32 v71, v72, v71
	v_fmamk_f32 v72, v96, 0x3e3c28d5, v126
	v_mul_f32_e32 v234, 0xbe3c28d5, v224
	v_mul_f32_e32 v227, 0x3f7ee86f, v232
	;; [unrolled: 1-line block ×4, first 2 shown]
	v_add_f32_e32 v70, v72, v70
	v_fmamk_f32 v72, v93, 0x3f6eb680, v150
	v_mul_f32_e32 v222, 0xbf4c4adb, v253
	v_mul_f32_e32 v216, 0x3dbcf732, v80
	;; [unrolled: 1-line block ×4, first 2 shown]
	v_add_f32_e32 v71, v72, v71
	v_fmamk_f32 v72, v91, 0xbf59a7d5, v69
	v_mul_f32_e32 v215, 0x3f6eb680, v109
	v_fmamk_f32 v75, v87, 0x3e3c28d5, v217
	v_mul_f32_e32 v214, 0x3ee437d1, v83
	v_mul_f32_e32 v213, 0xbf59a7d5, v210
	v_add_f32_e32 v71, v72, v71
	v_fmamk_f32 v72, v92, 0x3dbcf732, v104
	v_mul_f32_e32 v225, 0xbf7ee86f, v197
	v_mul_f32_e32 v228, 0xbe3c28d5, v209
	;; [unrolled: 1-line block ×4, first 2 shown]
	v_add_f32_e32 v71, v72, v71
	v_fmamk_f32 v72, v90, 0x3f3d2fb0, v131
	v_fmamk_f32 v76, v94, 0xbf7ba420, v228
	v_mul_f32_e32 v231, 0x3eb8f4ab, v220
	v_mul_f32_e32 v229, 0xbf65296c, v224
	;; [unrolled: 1-line block ×3, first 2 shown]
	v_add_f32_e32 v71, v72, v71
	v_fmamk_f32 v72, v98, 0xbf7ba420, v156
	v_mul_f32_e32 v230, 0x3f4c4adb, v160
	v_mul_f32_e32 v211, 0x3f3d2fb0, v250
	;; [unrolled: 1-line block ×4, first 2 shown]
	v_add_f32_e32 v72, v72, v71
	v_fmamk_f32 v71, v97, 0xbf65296c, v132
	v_mul_f32_e32 v196, 0xbf1a4643, v81
	v_mul_f32_e32 v176, 0xbf7ba420, v82
	;; [unrolled: 1-line block ×4, first 2 shown]
	v_add_f32_e32 v3, v71, v70
	v_fmamk_f32 v70, v99, 0x3ee437d1, v133
	v_fmamk_f32 v77, v87, 0x3f4c4adb, v196
	v_mul_f32_e32 v171, 0x3f6eb680, v210
	v_mul_f32_e32 v71, 0xbf4c4adb, v209
	;; [unrolled: 1-line block ×3, first 2 shown]
	v_add_f32_e32 v2, v70, v72
	v_fmamk_f32 v72, v89, 0x3f763a35, v134
	buffer_store_dword v2, off, s[20:23], 0 offset:104 ; 4-byte Folded Spill
	buffer_store_dword v3, off, s[20:23], 0 offset:108 ; 4-byte Folded Spill
	v_mov_b32_e32 v2, v114
	v_mov_b32_e32 v3, v115
	v_mov_b32_e32 v114, v136
	v_add_f32_e32 v72, v174, v72
	v_mov_b32_e32 v115, v137
	v_mul_f32_e32 v136, 0x3f3d2fb0, v82
	v_mul_f32_e32 v137, 0x3ee437d1, v109
	buffer_store_dword v157, off, s[20:23], 0 offset:40 ; 4-byte Folded Spill
	v_add_f32_e32 v72, v73, v72
	v_mov_b32_e32 v157, v138
	v_fmamk_f32 v73, v85, 0xbf2c7751, v136
	v_mul_f32_e32 v138, 0xbf7ba420, v83
	buffer_store_dword v158, off, s[20:23], 0 offset:44 ; 4-byte Folded Spill
	v_mul_f32_e32 v158, 0xbf763a35, v197
	v_mul_f32_e32 v70, 0x3f06c442, v209
	v_add_f32_e32 v72, v73, v72
	v_fmamk_f32 v73, v86, 0x3f65296c, v137
	v_fmamk_f32 v78, v94, 0xbf1a4643, v71
	v_mul_f32_e32 v208, 0x3e3c28d5, v198
	v_fmamk_f32 v74, v94, 0xbf59a7d5, v70
	v_mul_f32_e32 v206, 0x3f763a35, v220
	v_add_f32_e32 v72, v73, v72
	v_fmamk_f32 v73, v84, 0x3e3c28d5, v138
	v_mul_f32_e32 v205, 0x3f2c7751, v224
	v_mul_f32_e32 v111, 0xbf7ee86f, v160
	;; [unrolled: 1-line block ×4, first 2 shown]
	v_add_f32_e32 v72, v73, v72
	v_fmamk_f32 v73, v88, 0xbf7ee86f, v139
	v_mul_f32_e32 v154, 0x3f3d2fb0, v80
	v_mul_f32_e32 v110, 0x3dbcf732, v81
	;; [unrolled: 1-line block ×4, first 2 shown]
	v_add_f32_e32 v72, v73, v72
	v_fmamk_f32 v73, v95, 0xbe8c1d8e, v158
	v_fmamk_f32 v79, v87, 0x3f7ee86f, v110
	v_mul_f32_e32 v108, 0xbf59a7d5, v83
	v_mul_f32_e32 v105, 0xbe8c1d8e, v210
	;; [unrolled: 1-line block ×3, first 2 shown]
	v_add_f32_e32 v73, v173, v73
	v_mul_f32_e32 v100, 0xbf7ee86f, v209
	v_mul_f32_e32 v101, 0x3ee437d1, v161
	;; [unrolled: 1-line block ×4, first 2 shown]
	v_add_f32_e32 v73, v74, v73
	v_fmamk_f32 v74, v96, 0x3eb8f4ab, v142
	v_mul_f32_e32 v162, 0x3ee437d1, v82
	v_fmamk_f32 v80, v89, 0x3eb8f4ab, v191
	v_fmamk_f32 v81, v87, 0x3f2c7751, v169
	v_mul_f32_e32 v159, 0x3dbcf732, v109
	v_add_f32_e32 v72, v74, v72
	v_fmamk_f32 v74, v93, 0x3f3d2fb0, v236
	v_add_f32_e32 v80, v174, v80
	v_mul_f32_e32 v155, 0xbe8c1d8e, v83
	v_mul_f32_e32 v109, 0xbf59a7d5, v161
	;; [unrolled: 1-line block ×3, first 2 shown]
	v_add_f32_e32 v73, v74, v73
	v_fmamk_f32 v74, v91, 0x3ee437d1, v235
	v_add_f32_e32 v80, v81, v80
	v_fmamk_f32 v81, v85, 0x3f65296c, v162
	v_fmamk_f32 v82, v94, 0x3f3d2fb0, v209
	v_mul_f32_e32 v170, 0xbf763a35, v224
	v_add_f32_e32 v73, v74, v73
	v_fmamk_f32 v74, v92, 0xbf7ba420, v234
	v_add_f32_e32 v80, v81, v80
	v_fmamk_f32 v81, v86, 0x3f7ee86f, v159
	v_mul_f32_e32 v182, 0xbf4c4adb, v232
	v_mul_f32_e32 v161, 0xbe3c28d5, v253
	v_add_f32_e32 v73, v74, v73
	v_fmamk_f32 v74, v90, 0x3dbcf732, v227
	v_add_f32_e32 v80, v81, v80
	v_fmamk_f32 v81, v84, 0x3f763a35, v155
	v_fmac_f32_e32 v237, 0xbe3c28d5, v89
	v_fma_f32 v83, 0xbf7ba420, v95, -v243
	v_add_f32_e32 v73, v74, v73
	v_fmamk_f32 v74, v98, 0x3f6eb680, v223
	v_add_f32_e32 v80, v81, v80
	v_fmac_f32_e32 v238, 0x3eb8f4ab, v87
	v_add_f32_e32 v83, v173, v83
	v_fmac_f32_e32 v239, 0xbf06c442, v85
	v_add_f32_e32 v74, v74, v73
	v_fmamk_f32 v73, v97, 0x3f4c4adb, v221
	v_fmac_f32_e32 v240, 0x3f2c7751, v86
	v_fmac_f32_e32 v241, 0xbf4c4adb, v84
	;; [unrolled: 1-line block ×4, first 2 shown]
	v_add_f32_e32 v73, v73, v72
	v_fmamk_f32 v72, v99, 0xbf1a4643, v222
	v_fmac_f32_e32 v252, 0x3f7ee86f, v97
	v_fmac_f32_e32 v254, 0xbf06c442, v89
	;; [unrolled: 1-line block ×4, first 2 shown]
	v_add_f32_e32 v72, v72, v74
	v_fmamk_f32 v74, v89, 0x3f7ee86f, v216
	buffer_store_dword v72, off, s[20:23], 0 offset:112 ; 4-byte Folded Spill
	buffer_store_dword v73, off, s[20:23], 0 offset:116 ; 4-byte Folded Spill
	v_add_f32_e32 v74, v174, v74
	v_mul_f32_e32 v72, 0xbf65296c, v197
	v_mul_f32_e32 v73, 0xbeb8f4ab, v232
	buffer_store_dword v100, off, s[20:23], 0 offset:144 ; 4-byte Folded Spill
	v_fmamk_f32 v100, v94, 0x3dbcf732, v100
	v_add_f32_e32 v74, v75, v74
	v_fmamk_f32 v75, v85, 0xbf763a35, v218
	v_fma_f32 v181, 0x3ee437d1, v94, -v181
	v_fma_f32 v179, 0x3dbcf732, v93, -v179
	v_fmac_f32_e32 v185, 0x3f4c4adb, v86
	v_fmac_f32_e32 v117, 0xbf4c4adb, v89
	v_add_f32_e32 v74, v75, v74
	v_fmamk_f32 v75, v86, 0xbeb8f4ab, v215
	v_fmac_f32_e32 v134, 0xbf763a35, v89
	v_fmac_f32_e32 v216, 0xbf7ee86f, v89
	;; [unrolled: 1-line block ×4, first 2 shown]
	v_add_f32_e32 v74, v75, v74
	v_fmamk_f32 v75, v84, 0x3f65296c, v214
	v_fmac_f32_e32 v135, 0x3f06c442, v87
	v_fmac_f32_e32 v217, 0xbe3c28d5, v87
	;; [unrolled: 1-line block ×4, first 2 shown]
	v_add_f32_e32 v74, v75, v74
	v_fmamk_f32 v75, v88, 0x3f06c442, v213
	v_fmac_f32_e32 v169, 0xbf2c7751, v87
	v_fma_f32 v116, 0xbe8c1d8e, v99, -v116
	v_fmac_f32_e32 v119, 0xbeb8f4ab, v85
	v_fmac_f32_e32 v120, 0xbf06c442, v86
	v_add_f32_e32 v74, v75, v74
	v_fmamk_f32 v75, v95, 0x3dbcf732, v225
	v_fmac_f32_e32 v121, 0x3f7ee86f, v84
	v_fmac_f32_e32 v122, 0xbf2c7751, v88
	;; [unrolled: 1-line block ×4, first 2 shown]
	v_add_f32_e32 v75, v173, v75
	v_fmac_f32_e32 v136, 0x3f2c7751, v85
	v_fmac_f32_e32 v137, 0xbf65296c, v86
	v_fmac_f32_e32 v138, 0xbe3c28d5, v84
	v_fmac_f32_e32 v139, 0x3f7ee86f, v88
	v_add_f32_e32 v75, v76, v75
	v_fmamk_f32 v76, v96, 0xbf4c4adb, v219
	v_fmac_f32_e32 v142, 0xbeb8f4ab, v96
	v_fmac_f32_e32 v221, 0xbf4c4adb, v97
	v_fmac_f32_e32 v218, 0x3f763a35, v85
	v_fmac_f32_e32 v215, 0x3eb8f4ab, v86
	v_add_f32_e32 v74, v76, v74
	v_fmamk_f32 v76, v93, 0xbe8c1d8e, v233
	;; [unrolled: 6-line block ×4, first 2 shown]
	v_fmac_f32_e32 v193, 0xbf763a35, v97
	v_fmac_f32_e32 v155, 0xbf763a35, v84
	v_add_f32_e32 v75, v76, v75
	v_fmamk_f32 v76, v90, 0xbf59a7d5, v226
	v_add_f32_e32 v75, v76, v75
	v_fmamk_f32 v76, v98, 0xbf1a4643, v230
	;; [unrolled: 2-line block ×3, first 2 shown]
	v_fmac_f32_e32 v211, 0x3f2c7751, v97
	v_add_f32_e32 v75, v75, v74
	v_fmamk_f32 v74, v99, 0x3f3d2fb0, v212
	v_add_f32_e32 v74, v74, v76
	v_fmamk_f32 v76, v89, 0x3f65296c, v194
	v_fmac_f32_e32 v194, 0xbf65296c, v89
	v_add_f32_e32 v76, v174, v76
	v_add_f32_e32 v76, v77, v76
	v_fmamk_f32 v77, v85, 0xbe3c28d5, v176
	v_fmac_f32_e32 v176, 0x3e3c28d5, v85
	v_add_f32_e32 v76, v77, v76
	v_fmamk_f32 v77, v86, 0xbf763a35, v175
	v_fmac_f32_e32 v175, 0x3f763a35, v86
	;; [unrolled: 3-line block ×4, first 2 shown]
	v_add_f32_e32 v76, v77, v76
	v_fmamk_f32 v77, v95, 0x3ee437d1, v72
	v_add_f32_e32 v77, v173, v77
	v_add_f32_e32 v77, v78, v77
	v_fmamk_f32 v78, v96, 0x3f7ee86f, v195
	v_fmac_f32_e32 v195, 0xbf7ee86f, v96
	v_add_f32_e32 v76, v78, v76
	v_fmamk_f32 v78, v93, 0xbf7ba420, v208
	v_add_f32_e32 v77, v78, v77
	v_fmamk_f32 v78, v91, 0xbe8c1d8e, v206
	v_add_f32_e32 v77, v78, v77
	v_fmamk_f32 v78, v92, 0x3f3d2fb0, v205
	v_add_f32_e32 v77, v78, v77
	v_fmamk_f32 v78, v90, 0x3f6eb680, v73
	v_add_f32_e32 v77, v78, v77
	v_fmamk_f32 v78, v98, 0x3dbcf732, v111
	v_add_f32_e32 v78, v78, v77
	v_fmamk_f32 v77, v97, 0x3f06c442, v200
	v_fmac_f32_e32 v200, 0xbf06c442, v97
	v_add_f32_e32 v77, v77, v76
	v_fmamk_f32 v76, v99, 0xbf59a7d5, v207
	v_add_f32_e32 v76, v76, v78
	v_fmamk_f32 v78, v89, 0x3f2c7751, v154
	v_fmac_f32_e32 v154, 0xbf2c7751, v89
	v_fma_f32 v89, 0x3f3d2fb0, v95, -v199
	v_add_f32_e32 v78, v174, v78
	v_add_f32_e32 v87, v173, v89
	;; [unrolled: 1-line block ×3, first 2 shown]
	v_fmamk_f32 v79, v85, 0x3f4c4adb, v151
	v_fmac_f32_e32 v151, 0xbf4c4adb, v85
	v_add_f32_e32 v78, v79, v78
	v_fmamk_f32 v79, v86, 0x3e3c28d5, v153
	v_fmac_f32_e32 v153, 0xbe3c28d5, v86
	v_add_f32_e32 v78, v79, v78
	;; [unrolled: 3-line block ×4, first 2 shown]
	v_fmamk_f32 v79, v95, 0x3f3d2fb0, v199
	v_add_f32_e32 v79, v173, v79
	v_add_f32_e32 v79, v100, v79
	v_fmamk_f32 v100, v96, 0xbf65296c, v101
	v_fmac_f32_e32 v101, 0x3f65296c, v96
	v_add_f32_e32 v78, v100, v78
	v_mul_f32_e32 v100, 0xbf4c4adb, v198
	v_mul_f32_e32 v198, 0xbf65296c, v198
	buffer_store_dword v100, off, s[20:23], 0 offset:140 ; 4-byte Folded Spill
	v_fmamk_f32 v100, v93, 0xbf1a4643, v100
	v_add_f32_e32 v79, v100, v79
	v_mul_f32_e32 v100, 0xbe3c28d5, v220
	buffer_store_dword v100, off, s[20:23], 0 offset:136 ; 4-byte Folded Spill
	v_fmamk_f32 v100, v91, 0xbf7ba420, v100
	v_add_f32_e32 v79, v100, v79
	v_mul_f32_e32 v100, 0x3f06c442, v224
	v_fma_f32 v224, 0x3dbcf732, v99, -v255
	buffer_store_dword v100, off, s[20:23], 0 offset:132 ; 4-byte Folded Spill
	v_fmamk_f32 v100, v92, 0xbf59a7d5, v100
	v_add_f32_e32 v79, v100, v79
	v_mul_f32_e32 v100, 0x3f763a35, v232
	v_mul_f32_e32 v232, 0xbf06c442, v160
	buffer_store_dword v100, off, s[20:23], 0 offset:128 ; 4-byte Folded Spill
	v_fmamk_f32 v100, v90, 0xbe8c1d8e, v100
	v_add_f32_e32 v79, v100, v79
	v_mul_f32_e32 v100, 0x3f65296c, v160
	v_mul_f32_e32 v160, 0xbf7ba420, v250
	buffer_store_dword v100, off, s[20:23], 0 offset:120 ; 4-byte Folded Spill
	v_fmamk_f32 v100, v98, 0x3ee437d1, v100
	v_add_f32_e32 v152, v100, v79
	v_mul_f32_e32 v100, 0x3f6eb680, v250
	v_fmamk_f32 v79, v97, 0xbeb8f4ab, v100
	v_fmac_f32_e32 v100, 0x3eb8f4ab, v97
	v_add_f32_e32 v79, v79, v78
	v_mul_f32_e32 v78, 0x3eb8f4ab, v253
	buffer_store_dword v78, off, s[20:23], 0 offset:124 ; 4-byte Folded Spill
	v_fmamk_f32 v78, v99, 0x3f6eb680, v78
	v_add_f32_e32 v78, v78, v152
	v_mul_f32_e32 v152, 0xbf1a4643, v210
	v_mul_f32_e32 v210, 0xbeb8f4ab, v197
	;; [unrolled: 1-line block ×3, first 2 shown]
	v_fma_f32 v220, 0x3f6eb680, v94, -v244
	v_fmamk_f32 v81, v88, 0x3f4c4adb, v152
	v_fmac_f32_e32 v152, 0xbf4c4adb, v88
	v_fma_f32 v86, 0x3dbcf732, v91, -v197
	v_add_f32_e32 v83, v220, v83
	v_fma_f32 v220, 0xbf59a7d5, v93, -v245
	v_add_f32_e32 v80, v81, v80
	v_fmamk_f32 v81, v96, 0x3f06c442, v109
	v_fmac_f32_e32 v109, 0xbf06c442, v96
	v_add_f32_e32 v83, v220, v83
	v_fma_f32 v220, 0x3f3d2fb0, v91, -v246
	v_add_f32_e32 v80, v81, v80
	v_fmamk_f32 v81, v95, 0x3f6eb680, v210
	v_add_f32_e32 v83, v220, v83
	v_fma_f32 v220, 0xbf1a4643, v92, -v247
	v_add_f32_e32 v81, v173, v81
	v_add_f32_e32 v83, v220, v83
	;; [unrolled: 1-line block ×3, first 2 shown]
	v_fmamk_f32 v82, v93, 0x3ee437d1, v198
	v_fma_f32 v220, 0x3ee437d1, v90, -v249
	v_add_f32_e32 v81, v82, v81
	v_fmamk_f32 v82, v91, 0x3dbcf732, v197
	v_add_f32_e32 v83, v220, v83
	v_fma_f32 v220, 0xbe8c1d8e, v98, -v251
	v_add_f32_e32 v81, v82, v81
	v_fmamk_f32 v82, v92, 0xbe8c1d8e, v170
	v_add_f32_e32 v220, v220, v83
	v_add_f32_e32 v81, v82, v81
	v_fmamk_f32 v82, v90, 0xbf1a4643, v182
	v_add_f32_e32 v81, v82, v81
	v_fmamk_f32 v82, v98, 0xbf59a7d5, v232
	;; [unrolled: 2-line block ×3, first 2 shown]
	v_fmac_f32_e32 v160, 0xbe3c28d5, v97
	v_add_f32_e32 v81, v81, v80
	v_fmamk_f32 v80, v99, 0xbf7ba420, v161
	v_add_f32_e32 v80, v80, v82
	v_add_f32_e32 v82, v174, v237
	;; [unrolled: 1-line block ×13, first 2 shown]
	v_fma_f32 v180, 0xbf59a7d5, v95, -v184
	v_add_f32_e32 v178, v185, v178
	v_add_f32_e32 v180, v173, v180
	v_mov_b32_e32 v185, v166
	v_mov_b32_e32 v184, v165
	;; [unrolled: 1-line block ×4, first 2 shown]
	v_add_f32_e32 v180, v181, v180
	v_add_f32_e32 v178, v187, v178
	;; [unrolled: 1-line block ×3, first 2 shown]
	v_fma_f32 v180, 0xbf1a4643, v91, -v186
	buffer_load_dword v186, off, s[20:23], 0 offset:68 ; 4-byte Folded Reload
	v_add_f32_e32 v178, v189, v178
	v_add_f32_e32 v179, v180, v179
	v_fma_f32 v180, 0x3f6eb680, v92, -v188
	v_add_f32_e32 v178, v183, v178
	v_add_f32_e32 v179, v180, v179
	v_fma_f32 v180, 0xbf7ba420, v90, -v190
	;; [unrolled: 3-line block ×3, first 2 shown]
	v_add_f32_e32 v179, v180, v179
	v_mov_b32_e32 v181, v147
	v_mov_b32_e32 v180, v146
	;; [unrolled: 1-line block ×4, first 2 shown]
	s_clause 0x2
	buffer_load_dword v164, off, s[20:23], 0 offset:52
	buffer_load_dword v163, off, s[20:23], 0 offset:48
	;; [unrolled: 1-line block ×3, first 2 shown]
	v_add_f32_e32 v237, v116, v179
	v_add_f32_e32 v116, v174, v117
	v_fma_f32 v117, 0xbf1a4643, v95, -v68
	v_mov_b32_e32 v179, v124
	v_mov_b32_e32 v178, v123
	buffer_load_dword v124, off, s[20:23], 0 offset:32 ; 4-byte Folded Reload
	v_add_f32_e32 v116, v118, v116
	v_add_f32_e32 v117, v173, v117
	v_fma_f32 v118, 0xbe8c1d8e, v94, -v125
	v_add_f32_e32 v116, v119, v116
	v_mov_b32_e32 v119, v143
	v_add_f32_e32 v117, v118, v117
	v_fma_f32 v118, 0x3f6eb680, v93, -v150
	buffer_load_dword v150, off, s[20:23], 0 offset:36 ; 4-byte Folded Reload
	v_add_f32_e32 v116, v120, v116
	v_add_f32_e32 v117, v118, v117
	v_fma_f32 v118, 0xbf59a7d5, v91, -v69
	v_add_f32_e32 v116, v121, v116
	v_add_f32_e32 v117, v118, v117
	v_fma_f32 v118, 0x3dbcf732, v92, -v104
	v_add_f32_e32 v116, v122, v116
	v_mov_b32_e32 v122, v127
	v_mov_b32_e32 v123, v128
	;; [unrolled: 1-line block ×3, first 2 shown]
	v_add_f32_e32 v117, v118, v117
	v_fma_f32 v118, 0x3f3d2fb0, v90, -v131
	v_add_f32_e32 v116, v126, v116
	buffer_load_dword v131, off, s[20:23], 0 offset:64 ; 4-byte Folded Reload
	v_mov_b32_e32 v125, v148
	v_mov_b32_e32 v128, v141
	v_add_f32_e32 v117, v118, v117
	v_fma_f32 v118, 0xbf7ba420, v98, -v156
	v_add_f32_e32 v240, v132, v116
	v_add_f32_e32 v116, v174, v134
	v_mov_b32_e32 v126, v149
	v_mov_b32_e32 v149, v107
	v_add_f32_e32 v117, v118, v117
	v_fma_f32 v118, 0x3ee437d1, v99, -v133
	v_add_f32_e32 v116, v135, v116
	v_mov_b32_e32 v135, v113
	v_mov_b32_e32 v134, v112
	;; [unrolled: 1-line block ×3, first 2 shown]
	v_add_f32_e32 v239, v118, v117
	v_fma_f32 v117, 0xbe8c1d8e, v95, -v158
	v_fma_f32 v118, 0xbf59a7d5, v94, -v70
	v_add_f32_e32 v116, v136, v116
	v_mov_b32_e32 v132, v167
	v_mov_b32_e32 v113, v145
	v_add_f32_e32 v117, v173, v117
	v_mov_b32_e32 v145, v103
	v_add_f32_e32 v116, v137, v116
	v_mov_b32_e32 v137, v115
	v_mov_b32_e32 v136, v114
	v_add_f32_e32 v117, v118, v117
	v_fma_f32 v118, 0x3f3d2fb0, v93, -v236
	v_add_f32_e32 v116, v138, v116
	v_mov_b32_e32 v138, v157
	buffer_load_dword v157, off, s[20:23], 0 offset:40 ; 4-byte Folded Reload
	v_mov_b32_e32 v115, v3
	v_add_f32_e32 v117, v118, v117
	v_fma_f32 v118, 0x3ee437d1, v91, -v235
	v_add_f32_e32 v116, v139, v116
	v_mov_b32_e32 v114, v2
	v_mov_b32_e32 v139, v201
	;; [unrolled: 1-line block ×3, first 2 shown]
	v_add_f32_e32 v117, v118, v117
	v_fma_f32 v118, 0xbf7ba420, v92, -v234
	v_add_f32_e32 v116, v142, v116
	v_mov_b32_e32 v141, v203
	v_mov_b32_e32 v133, v168
	;; [unrolled: 1-line block ×3, first 2 shown]
	v_add_f32_e32 v117, v118, v117
	v_fma_f32 v118, 0x3dbcf732, v90, -v227
	v_add_f32_e32 v221, v221, v116
	v_add_f32_e32 v116, v174, v216
	v_mov_b32_e32 v140, v202
	v_mov_b32_e32 v142, v204
	v_add_f32_e32 v117, v118, v117
	v_fma_f32 v118, 0x3f6eb680, v98, -v223
	v_add_f32_e32 v116, v217, v116
	v_add_f32_e32 v117, v118, v117
	v_fma_f32 v118, 0xbf1a4643, v99, -v222
	v_add_f32_e32 v116, v218, v116
	v_add_f32_e32 v220, v118, v117
	v_fma_f32 v117, 0x3dbcf732, v95, -v225
	v_fma_f32 v118, 0xbf7ba420, v94, -v228
	v_add_f32_e32 v116, v215, v116
	v_add_f32_e32 v117, v173, v117
	;; [unrolled: 1-line block ×4, first 2 shown]
	v_fma_f32 v118, 0xbe8c1d8e, v93, -v233
	v_add_f32_e32 v116, v213, v116
	v_add_f32_e32 v117, v118, v117
	v_fma_f32 v118, 0x3f6eb680, v91, -v231
	v_add_f32_e32 v116, v219, v116
	v_add_f32_e32 v117, v118, v117
	v_fma_f32 v118, 0x3ee437d1, v92, -v229
	v_add_f32_e32 v117, v118, v117
	v_fma_f32 v118, 0xbf59a7d5, v90, -v226
	;; [unrolled: 2-line block ×4, first 2 shown]
	v_add_f32_e32 v212, v211, v116
	v_add_f32_e32 v116, v174, v194
	;; [unrolled: 1-line block ×3, first 2 shown]
	v_fma_f32 v117, 0x3ee437d1, v95, -v72
	v_add_f32_e32 v116, v196, v116
	v_fma_f32 v95, 0x3f6eb680, v95, -v210
	v_fma_f32 v118, 0xbf1a4643, v94, -v71
	v_add_f32_e32 v117, v173, v117
	v_add_f32_e32 v116, v176, v116
	;; [unrolled: 1-line block ×5, first 2 shown]
	v_fma_f32 v118, 0xbf7ba420, v93, -v208
	v_add_f32_e32 v116, v172, v116
	v_add_f32_e32 v117, v118, v117
	v_fma_f32 v118, 0xbe8c1d8e, v91, -v206
	v_add_f32_e32 v116, v171, v116
	v_add_f32_e32 v117, v118, v117
	;; [unrolled: 3-line block ×4, first 2 shown]
	v_add_f32_e32 v117, v118, v117
	v_fma_f32 v118, 0x3dbcf732, v98, -v111
	v_add_f32_e32 v110, v110, v116
	v_add_f32_e32 v116, v174, v191
	v_add_f32_e32 v117, v118, v117
	v_add_f32_e32 v110, v151, v110
	v_fma_f32 v118, 0xbf59a7d5, v99, -v207
	v_add_f32_e32 v110, v153, v110
	v_add_f32_e32 v171, v118, v117
	;; [unrolled: 1-line block ×3, first 2 shown]
	s_waitcnt vmcnt(4)
	v_fma_f32 v89, 0x3dbcf732, v94, -v0
	buffer_load_dword v0, off, s[20:23], 0 offset:140 ; 4-byte Folded Reload
	v_fma_f32 v94, 0x3f3d2fb0, v94, -v209
	v_add_f32_e32 v87, v89, v87
	v_add_f32_e32 v89, v169, v116
	;; [unrolled: 1-line block ×10, first 2 shown]
	s_waitcnt vmcnt(0)
	v_fma_f32 v110, 0xbf1a4643, v93, -v0
	buffer_load_dword v0, off, s[20:23], 0 offset:136 ; 4-byte Folded Reload
	v_fma_f32 v93, 0x3ee437d1, v93, -v198
	v_add_f32_e32 v87, v110, v87
	v_add_f32_e32 v85, v93, v85
	;; [unrolled: 1-line block ×3, first 2 shown]
	v_fma_f32 v86, 0xbe8c1d8e, v92, -v170
	v_add_f32_e32 v85, v86, v85
	v_fma_f32 v86, 0xbf1a4643, v90, -v182
	v_add_f32_e32 v85, v86, v85
	;; [unrolled: 2-line block ×3, first 2 shown]
	v_add_f32_e32 v85, v100, v84
	s_waitcnt vmcnt(0)
	v_fma_f32 v95, 0xbf7ba420, v91, -v0
	buffer_load_dword v0, off, s[20:23], 0 offset:132 ; 4-byte Folded Reload
	v_add_f32_e32 v87, v95, v87
	s_waitcnt vmcnt(0)
	v_fma_f32 v91, 0xbf59a7d5, v92, -v0
	s_clause 0x4
	buffer_load_dword v0, off, s[20:23], 0 offset:128
	buffer_load_dword v158, off, s[20:23], 0 offset:44
	;; [unrolled: 1-line block ×5, first 2 shown]
	v_add_f32_e32 v87, v91, v87
	s_waitcnt vmcnt(4)
	v_fma_f32 v91, 0xbe8c1d8e, v90, -v0
	buffer_load_dword v0, off, s[20:23], 0 offset:120 ; 4-byte Folded Reload
	v_fma_f32 v90, 0xbf7ba420, v99, -v161
	s_waitcnt vmcnt(3)
	v_or_b32_e32 v120, 0xc0, v143
	v_or_b32_e32 v121, 0x180, v143
	v_add_f32_e32 v87, v91, v87
	v_add_f32_e32 v86, v90, v86
	s_waitcnt vmcnt(0)
	v_fma_f32 v88, 0x3ee437d1, v98, -v0
	buffer_load_dword v0, off, s[20:23], 0 offset:124 ; 4-byte Folded Reload
	v_add_f32_e32 v87, v88, v87
	s_waitcnt vmcnt(0)
	v_fma_f32 v88, 0x3f6eb680, v99, -v0
	s_clause 0x1
	buffer_load_dword v0, off, s[20:23], 0 offset:96
	buffer_load_dword v1, off, s[20:23], 0 offset:100
	v_add_f32_e32 v84, v88, v87
	v_add_f32_e32 v87, v160, v89
	s_waitcnt vmcnt(0)
	v_lshl_add_u32 v91, v1, 3, v0
	s_clause 0x1
	buffer_load_dword v0, off, s[20:23], 0 offset:72
	buffer_load_dword v1, off, s[20:23], 0 offset:76
	s_waitcnt vmcnt(0)
	ds_write2_b64 v91, v[0:1], v[80:81] offset1:1
	ds_write2_b64 v91, v[78:79], v[76:77] offset0:2 offset1:3
	s_clause 0x1
	buffer_load_dword v0, off, s[20:23], 0 offset:112
	buffer_load_dword v1, off, s[20:23], 0 offset:116
	s_waitcnt vmcnt(0)
	ds_write2_b64 v91, v[74:75], v[0:1] offset0:4 offset1:5
	s_clause 0x3
	buffer_load_dword v0, off, s[20:23], 0 offset:88
	buffer_load_dword v1, off, s[20:23], 0 offset:92
	buffer_load_dword v2, off, s[20:23], 0 offset:104
	buffer_load_dword v3, off, s[20:23], 0 offset:108
	s_waitcnt vmcnt(0)
	ds_write2_b64 v91, v[2:3], v[0:1] offset0:6 offset1:7
	s_clause 0x1
	buffer_load_dword v0, off, s[20:23], 0 offset:80
	buffer_load_dword v1, off, s[20:23], 0 offset:84
	s_waitcnt vmcnt(0)
	ds_write2_b64 v91, v[0:1], v[82:83] offset0:8 offset1:9
	ds_write2_b64 v91, v[237:238], v[239:240] offset0:10 offset1:11
	;; [unrolled: 1-line block ×4, first 2 shown]
	ds_write_b64 v91, v[86:87] offset:128
.LBB0_13:
	s_or_b32 exec_lo, exec_lo, s0
	s_waitcnt lgkmcnt(0)
	s_waitcnt_vscnt null, 0x0
	s_barrier
	buffer_gl0_inv
	ds_read2_b64 v[68:71], v177 offset0:136 offset1:153
	v_add_nc_u32_e32 v2, 0x800, v177
	ds_read2_b64 v[72:75], v177 offset0:170 offset1:187
	ds_read2_b64 v[76:79], v2 offset0:16 offset1:33
	ds_read2_b64 v[80:83], v177 offset1:17
	ds_read2_b64 v[84:87], v177 offset0:34 offset1:51
	ds_read2_b64 v[88:91], v177 offset0:68 offset1:85
	;; [unrolled: 1-line block ×8, first 2 shown]
	s_waitcnt lgkmcnt(0)
	s_barrier
	buffer_gl0_inv
	s_mov_b32 s4, 0x14141414
	s_mov_b32 s5, 0x3f641414
	s_mul_hi_u32 s1, s8, 24
	s_mul_i32 s6, s8, 0x180
	v_mul_f32_e32 v118, v29, v73
	v_fmac_f32_e32 v118, v28, v72
	v_mul_f32_e32 v0, v5, v68
	v_mul_f32_e32 v117, v5, v71
	;; [unrolled: 1-line block ×4, first 2 shown]
	v_fma_f32 v5, v4, v69, -v0
	v_mul_f32_e32 v0, v7, v76
	v_fmac_f32_e32 v117, v4, v70
	v_fma_f32 v70, v4, v71, -v1
	v_mul_f32_e32 v1, v7, v78
	v_fmac_f32_e32 v116, v4, v68
	v_fma_f32 v4, v6, v77, -v0
	v_mul_f32_e32 v0, v29, v72
	v_mul_f32_e32 v71, v31, v105
	v_fma_f32 v29, v6, v79, -v1
	v_mul_f32_e32 v1, v31, v104
	v_mul_f32_e32 v31, v25, v75
	v_fma_f32 v28, v28, v73, -v0
	v_mul_f32_e32 v0, v25, v74
	v_fmac_f32_e32 v71, v30, v104
	v_fma_f32 v25, v30, v105, -v1
	v_mul_f32_e32 v1, v27, v106
	v_mul_f32_e32 v30, v27, v107
	v_fmac_f32_e32 v31, v24, v74
	v_fma_f32 v24, v24, v75, -v0
	v_mul_f32_e32 v27, v21, v93
	v_mul_f32_e32 v0, v21, v92
	v_fma_f32 v21, v26, v107, -v1
	v_mul_f32_e32 v1, v23, v108
	v_mul_f32_e32 v68, v7, v77
	;; [unrolled: 1-line block ×3, first 2 shown]
	v_fma_f32 v72, v20, v93, -v0
	v_mul_f32_e32 v0, v17, v94
	v_fma_f32 v74, v22, v109, -v1
	v_mul_f32_e32 v1, v19, v110
	v_fmac_f32_e32 v68, v6, v76
	v_fmac_f32_e32 v69, v6, v78
	v_mul_f32_e32 v73, v17, v95
	v_fma_f32 v76, v16, v95, -v0
	v_mul_f32_e32 v0, v13, v100
	v_fma_f32 v78, v18, v111, -v1
	v_mul_f32_e32 v1, v15, v151
	v_fmac_f32_e32 v27, v20, v92
	v_fmac_f32_e32 v73, v16, v94
	v_mul_f32_e32 v77, v13, v101
	v_fma_f32 v92, v12, v101, -v0
	v_mul_f32_e32 v0, v9, v102
	v_fma_f32 v94, v14, v152, -v1
	v_mul_f32_e32 v1, v11, v153
	v_fmac_f32_e32 v77, v12, v100
	v_mul_f32_e32 v93, v9, v103
	v_fma_f32 v100, v8, v103, -v0
	v_add_f32_e32 v0, v116, v68
	v_fma_f32 v101, v10, v154, -v1
	v_add_f32_e32 v1, v5, v4
	v_fmac_f32_e32 v93, v8, v102
	v_sub_f32_e32 v6, v5, v4
	v_fma_f32 v0, -0.5, v0, v80
	v_add_f32_e32 v7, v81, v5
	v_fma_f32 v1, -0.5, v1, v81
	v_sub_f32_e32 v8, v116, v68
	v_mul_f32_e32 v95, v11, v154
	v_fmamk_f32 v5, v6, 0xbf5db3d7, v0
	v_fmac_f32_e32 v0, 0x3f5db3d7, v6
	v_add_f32_e32 v4, v7, v4
	v_add_f32_e32 v7, v117, v69
	v_fmamk_f32 v6, v8, 0x3f5db3d7, v1
	v_fmac_f32_e32 v1, 0xbf5db3d7, v8
	v_add_f32_e32 v8, v70, v29
	v_fmac_f32_e32 v30, v26, v106
	v_mul_f32_e32 v75, v19, v111
	v_fmac_f32_e32 v95, v10, v153
	v_add_f32_e32 v9, v82, v117
	v_fma_f32 v82, -0.5, v7, v82
	v_sub_f32_e32 v10, v70, v29
	v_add_f32_e32 v11, v83, v70
	v_fmac_f32_e32 v83, -0.5, v8
	v_sub_f32_e32 v12, v117, v69
	v_mul_f32_e32 v26, v23, v109
	v_fmac_f32_e32 v75, v18, v110
	v_mul_f32_e32 v79, v15, v152
	v_add_f32_e32 v7, v9, v69
	v_fmamk_f32 v9, v10, 0xbf5db3d7, v82
	v_fmac_f32_e32 v82, 0x3f5db3d7, v10
	v_add_f32_e32 v8, v11, v29
	v_add_f32_e32 v11, v118, v71
	v_fmamk_f32 v10, v12, 0x3f5db3d7, v83
	v_fmac_f32_e32 v83, 0xbf5db3d7, v12
	v_add_f32_e32 v12, v28, v25
	v_add_f32_e32 v18, v31, v30
	v_fmac_f32_e32 v26, v22, v108
	v_fmac_f32_e32 v79, v14, v151
	v_fma_f32 v11, -0.5, v11, v84
	v_sub_f32_e32 v14, v28, v25
	v_add_f32_e32 v16, v85, v28
	v_fma_f32 v12, -0.5, v12, v85
	v_sub_f32_e32 v17, v118, v71
	v_add_f32_e32 v19, v86, v31
	;; [unrolled: 3-line block ×3, first 2 shown]
	v_fmamk_f32 v15, v14, 0xbf5db3d7, v11
	v_fmac_f32_e32 v11, 0x3f5db3d7, v14
	v_add_f32_e32 v14, v16, v25
	v_fmamk_f32 v16, v17, 0x3f5db3d7, v12
	v_fmac_f32_e32 v12, 0xbf5db3d7, v17
	v_add_f32_e32 v20, v24, v21
	v_add_f32_e32 v17, v19, v30
	v_fmamk_f32 v19, v18, 0xbf5db3d7, v86
	v_fmac_f32_e32 v86, 0x3f5db3d7, v18
	v_add_f32_e32 v18, v22, v21
	v_add_f32_e32 v21, v27, v26
	v_sub_f32_e32 v28, v72, v74
	v_fmac_f32_e32 v87, -0.5, v20
	v_sub_f32_e32 v23, v31, v30
	v_add_f32_e32 v22, v88, v27
	v_fma_f32 v21, -0.5, v21, v88
	v_add_f32_e32 v24, v72, v74
	v_add_f32_e32 v29, v89, v72
	;; [unrolled: 1-line block ×4, first 2 shown]
	v_fmamk_f32 v25, v28, 0xbf5db3d7, v21
	v_fmac_f32_e32 v21, 0x3f5db3d7, v28
	v_add_f32_e32 v28, v73, v75
	v_fmamk_f32 v20, v23, 0x3f5db3d7, v87
	v_fmac_f32_e32 v87, 0xbf5db3d7, v23
	v_add_f32_e32 v23, v22, v26
	v_fma_f32 v22, -0.5, v24, v89
	v_sub_f32_e32 v27, v27, v26
	v_add_f32_e32 v24, v29, v74
	v_add_f32_e32 v29, v90, v73
	;; [unrolled: 1-line block ×3, first 2 shown]
	v_fma_f32 v90, -0.5, v28, v90
	v_sub_f32_e32 v28, v76, v78
	v_add_f32_e32 v31, v91, v76
	v_add_f32_e32 v3, v3, v68
	;; [unrolled: 1-line block ×3, first 2 shown]
	v_fmamk_f32 v26, v27, 0x3f5db3d7, v22
	v_fmac_f32_e32 v22, 0xbf5db3d7, v27
	v_add_f32_e32 v27, v29, v75
	v_fmac_f32_e32 v91, -0.5, v30
	v_sub_f32_e32 v68, v73, v75
	v_fmamk_f32 v29, v28, 0xbf5db3d7, v90
	v_fmac_f32_e32 v90, 0x3f5db3d7, v28
	v_add_f32_e32 v28, v31, v78
	v_add_f32_e32 v31, v77, v79
	;; [unrolled: 1-line block ×4, first 2 shown]
	v_fmamk_f32 v30, v68, 0x3f5db3d7, v91
	v_fmac_f32_e32 v91, 0xbf5db3d7, v68
	v_fma_f32 v68, -0.5, v31, v96
	v_sub_f32_e32 v31, v92, v94
	v_add_f32_e32 v70, v69, v79
	v_add_f32_e32 v73, v97, v92
	v_fma_f32 v69, -0.5, v71, v97
	v_sub_f32_e32 v74, v77, v79
	v_fmamk_f32 v72, v31, 0xbf5db3d7, v68
	v_fmac_f32_e32 v68, 0x3f5db3d7, v31
	v_add_f32_e32 v71, v73, v94
	v_add_f32_e32 v31, v93, v95
	v_fmamk_f32 v73, v74, 0x3f5db3d7, v69
	v_fmac_f32_e32 v69, 0xbf5db3d7, v74
	v_add_f32_e32 v74, v100, v101
	v_add_f32_e32 v75, v98, v93
	v_fma_f32 v98, -0.5, v31, v98
	v_sub_f32_e32 v31, v100, v101
	v_add_f32_e32 v77, v99, v100
	v_fmac_f32_e32 v99, -0.5, v74
	v_sub_f32_e32 v78, v93, v95
	ds_write2_b64 v177, v[3:4], v[5:6] offset1:17
	ds_write2_b64 v177, v[0:1], v[7:8] offset0:34 offset1:51
	ds_write2_b64 v177, v[9:10], v[82:83] offset0:68 offset1:85
	;; [unrolled: 1-line block ×3, first 2 shown]
	ds_write_b64 v164, v[11:12] offset:1088
	ds_write2_b64 v163, v[17:18], v[19:20] offset0:153 offset1:170
	ds_write_b64 v163, v[86:87] offset:1496
	v_add_nc_u32_e32 v0, 0x400, v157
	v_add_nc_u32_e32 v1, 0x800, v150
	v_add_f32_e32 v74, v75, v95
	v_fmamk_f32 v76, v31, 0xbf5db3d7, v98
	v_add_f32_e32 v75, v77, v101
	v_fmamk_f32 v77, v78, 0x3f5db3d7, v99
	v_add_nc_u32_e32 v3, 0x800, v124
	v_fmac_f32_e32 v98, 0x3f5db3d7, v31
	v_fmac_f32_e32 v99, 0xbf5db3d7, v78
	ds_write2_b64 v158, v[23:24], v[25:26] offset0:204 offset1:221
	ds_write_b64 v158, v[21:22] offset:1904
	ds_write2_b64 v0, v[27:28], v[29:30] offset0:127 offset1:144
	ds_write_b64 v157, v[90:91] offset:2312
	ds_write2_b64 v1, v[70:71], v[72:73] offset0:50 offset1:67
	ds_write_b64 v150, v[68:69] offset:2720
	ds_write2_b64 v3, v[74:75], v[76:77] offset0:101 offset1:118
	ds_write_b64 v124, v[98:99] offset:3128
	s_waitcnt lgkmcnt(0)
	s_barrier
	buffer_gl0_inv
	ds_read2_b64 v[3:6], v177 offset0:34 offset1:51
	ds_read2_b64 v[7:10], v177 offset0:102 offset1:119
	;; [unrolled: 1-line block ×4, first 2 shown]
	ds_read2_b64 v[19:22], v177 offset1:17
	ds_read2_b64 v[23:26], v177 offset0:238 offset1:255
	ds_read2_b64 v[27:30], v2 offset0:50 offset1:67
	;; [unrolled: 1-line block ×7, first 2 shown]
	s_waitcnt lgkmcnt(11)
	v_mul_f32_e32 v0, v65, v6
	v_mul_f32_e32 v1, v65, v5
	s_waitcnt lgkmcnt(10)
	v_mul_f32_e32 v31, v67, v7
	v_fmac_f32_e32 v0, v64, v5
	v_mul_f32_e32 v5, v67, v8
	v_fma_f32 v1, v64, v6, -v1
	s_waitcnt lgkmcnt(9)
	v_mul_f32_e32 v6, v53, v14
	v_mul_f32_e32 v53, v53, v13
	v_fmac_f32_e32 v5, v66, v7
	v_fma_f32 v7, v66, v8, -v31
	s_waitcnt lgkmcnt(8)
	v_mul_f32_e32 v8, v55, v16
	v_fmac_f32_e32 v6, v52, v13
	v_fma_f32 v13, v52, v14, -v53
	v_mul_f32_e32 v14, v55, v15
	s_waitcnt lgkmcnt(6)
	v_mul_f32_e32 v31, v37, v26
	v_fmac_f32_e32 v8, v54, v15
	v_mul_f32_e32 v15, v37, v25
	s_waitcnt lgkmcnt(5)
	v_mul_f32_e32 v37, v39, v28
	v_fma_f32 v14, v54, v16, -v14
	v_fmac_f32_e32 v31, v36, v25
	v_mul_f32_e32 v16, v39, v27
	v_fma_f32 v15, v36, v26, -v15
	v_mul_f32_e32 v36, v63, v10
	v_fmac_f32_e32 v37, v38, v27
	s_waitcnt lgkmcnt(2)
	v_mul_f32_e32 v39, v49, v77
	v_fma_f32 v16, v38, v28, -v16
	v_mul_f32_e32 v38, v63, v9
	v_fmac_f32_e32 v36, v62, v9
	v_mul_f32_e32 v9, v49, v76
	v_mul_f32_e32 v49, v51, v18
	v_fmac_f32_e32 v39, v48, v76
	v_fma_f32 v38, v62, v10, -v38
	v_mul_f32_e32 v10, v51, v17
	v_fma_f32 v48, v48, v77, -v9
	v_fmac_f32_e32 v49, v50, v17
	s_waitcnt lgkmcnt(1)
	v_mul_f32_e32 v17, v41, v81
	v_mul_f32_e32 v9, v41, v80
	v_fma_f32 v18, v50, v18, -v10
	v_mul_f32_e32 v41, v43, v30
	v_mul_f32_e32 v10, v43, v29
	v_fmac_f32_e32 v17, v40, v80
	v_fma_f32 v40, v40, v81, -v9
	s_waitcnt lgkmcnt(0)
	v_mul_f32_e32 v9, v185, v84
	v_fmac_f32_e32 v41, v42, v29
	v_fma_f32 v29, v42, v30, -v10
	v_mul_f32_e32 v10, v57, v74
	v_mul_f32_e32 v52, v45, v79
	v_fma_f32 v30, v184, v85, -v9
	v_mul_f32_e32 v9, v59, v11
	v_mul_f32_e32 v53, v47, v24
	;; [unrolled: 3-line block ×4, first 2 shown]
	v_fmac_f32_e32 v52, v44, v78
	v_fma_f32 v44, v44, v79, -v10
	v_mul_f32_e32 v47, v33, v83
	v_fmac_f32_e32 v53, v46, v23
	v_fma_f32 v46, v46, v24, -v9
	v_mul_f32_e32 v9, v33, v82
	v_mul_f32_e32 v33, v35, v69
	;; [unrolled: 1-line block ×3, first 2 shown]
	v_fmac_f32_e32 v25, v165, v70
	v_fma_f32 v26, v165, v71, -v26
	v_mul_f32_e32 v50, v59, v12
	v_fma_f32 v54, v32, v83, -v9
	v_fmac_f32_e32 v33, v34, v68
	v_sub_f32_e32 v8, v19, v8
	v_fma_f32 v34, v34, v69, -v10
	v_sub_f32_e32 v9, v20, v14
	v_sub_f32_e32 v10, v5, v37
	v_fmac_f32_e32 v50, v58, v11
	v_fma_f32 v11, v19, 2.0, -v8
	v_sub_f32_e32 v12, v7, v16
	v_fma_f32 v16, v20, 2.0, -v9
	v_fma_f32 v5, v5, 2.0, -v10
	v_sub_f32_e32 v15, v1, v15
	v_sub_f32_e32 v19, v6, v25
	;; [unrolled: 1-line block ×4, first 2 shown]
	v_fma_f32 v7, v7, 2.0, -v12
	v_fma_f32 v1, v1, 2.0, -v15
	v_sub_f32_e32 v23, v11, v5
	v_fma_f32 v5, v6, 2.0, -v19
	v_fma_f32 v6, v13, 2.0, -v20
	;; [unrolled: 1-line block ×3, first 2 shown]
	v_sub_f32_e32 v24, v16, v7
	v_add_f32_e32 v25, v8, v12
	v_sub_f32_e32 v26, v9, v10
	v_add_f32_e32 v20, v14, v20
	v_sub_f32_e32 v19, v15, v19
	v_sub_f32_e32 v13, v1, v6
	v_fma_f32 v7, v11, 2.0, -v23
	v_fma_f32 v11, v16, 2.0, -v24
	;; [unrolled: 1-line block ×3, first 2 shown]
	v_sub_f32_e32 v12, v0, v5
	v_fma_f32 v8, v14, 2.0, -v20
	v_fma_f32 v14, v9, 2.0, -v26
	;; [unrolled: 1-line block ×5, first 2 shown]
	v_fmamk_f32 v0, v8, 0xbf3504f3, v10
	v_mul_f32_e32 v15, v183, v86
	v_fmamk_f32 v1, v9, 0xbf3504f3, v14
	v_sub_f32_e32 v6, v11, v6
	v_mul_f32_e32 v27, v61, v73
	v_fmac_f32_e32 v0, 0x3f3504f3, v9
	v_mul_f32_e32 v28, v61, v72
	v_fmac_f32_e32 v1, 0xbf3504f3, v8
	v_fma_f32 v8, v11, 2.0, -v6
	v_add_f32_e32 v11, v23, v13
	v_mul_f32_e32 v43, v185, v85
	v_fma_f32 v37, v182, v87, -v15
	v_fma_f32 v9, v10, 2.0, -v0
	v_fma_f32 v10, v14, 2.0, -v1
	v_fmamk_f32 v13, v20, 0x3f3504f3, v25
	v_fmamk_f32 v14, v19, 0x3f3504f3, v26
	v_fma_f32 v15, v23, 2.0, -v11
	v_sub_f32_e32 v23, v21, v49
	v_fmac_f32_e32 v27, v60, v72
	v_fma_f32 v28, v60, v73, -v28
	v_fmac_f32_e32 v43, v184, v84
	v_sub_f32_e32 v12, v24, v12
	v_fmac_f32_e32 v13, 0x3f3504f3, v19
	v_fmac_f32_e32 v14, 0xbf3504f3, v20
	v_sub_f32_e32 v18, v22, v18
	v_sub_f32_e32 v19, v36, v41
	v_fma_f32 v20, v21, 2.0, -v23
	v_sub_f32_e32 v21, v38, v29
	v_fmac_f32_e32 v47, v32, v82
	v_fma_f32 v16, v24, 2.0, -v12
	v_sub_f32_e32 v17, v27, v17
	v_fma_f32 v22, v22, 2.0, -v18
	v_fma_f32 v24, v36, 2.0, -v19
	v_sub_f32_e32 v29, v28, v40
	v_fma_f32 v31, v38, 2.0, -v21
	v_sub_f32_e32 v32, v39, v43
	v_sub_f32_e32 v30, v48, v30
	v_fma_f32 v27, v27, 2.0, -v17
	v_fma_f32 v28, v28, 2.0, -v29
	v_sub_f32_e32 v36, v20, v24
	v_sub_f32_e32 v38, v22, v31
	v_fma_f32 v24, v39, 2.0, -v32
	v_fma_f32 v31, v48, 2.0, -v30
	v_add_f32_e32 v39, v23, v21
	v_add_f32_e32 v48, v17, v30
	v_sub_f32_e32 v43, v18, v19
	v_sub_f32_e32 v49, v29, v32
	;; [unrolled: 1-line block ×3, first 2 shown]
	v_fma_f32 v30, v23, 2.0, -v39
	v_sub_f32_e32 v31, v28, v31
	v_fma_f32 v23, v17, 2.0, -v48
	v_mul_f32_e32 v42, v57, v75
	v_mul_f32_e32 v35, v183, v87
	v_fma_f32 v40, v20, 2.0, -v36
	v_fma_f32 v41, v22, 2.0, -v38
	v_fma_f32 v55, v18, 2.0, -v43
	v_fma_f32 v20, v29, 2.0, -v49
	v_fma_f32 v21, v27, 2.0, -v32
	v_fma_f32 v22, v28, 2.0, -v31
	v_fmamk_f32 v17, v23, 0xbf3504f3, v30
	v_sub_f32_e32 v28, v38, v32
	v_fmac_f32_e32 v42, v56, v74
	v_fmac_f32_e32 v35, v182, v86
	v_fmamk_f32 v18, v20, 0xbf3504f3, v55
	v_sub_f32_e32 v21, v40, v21
	v_fmac_f32_e32 v17, 0x3f3504f3, v20
	v_add_f32_e32 v27, v36, v31
	v_fma_f32 v32, v38, 2.0, -v28
	v_sub_f32_e32 v38, v4, v46
	v_sub_f32_e32 v34, v45, v34
	;; [unrolled: 1-line block ×3, first 2 shown]
	v_fma_f32 v19, v25, 2.0, -v13
	v_fmac_f32_e32 v18, 0xbf3504f3, v23
	v_fma_f32 v23, v40, 2.0, -v21
	v_fma_f32 v25, v30, 2.0, -v17
	v_fmamk_f32 v30, v49, 0x3f3504f3, v43
	v_fma_f32 v31, v36, 2.0, -v27
	v_sub_f32_e32 v36, v3, v53
	v_sub_f32_e32 v33, v50, v33
	;; [unrolled: 1-line block ×3, first 2 shown]
	v_fma_f32 v4, v4, 2.0, -v38
	v_fma_f32 v45, v45, 2.0, -v34
	v_sub_f32_e32 v35, v52, v35
	v_fma_f32 v24, v41, 2.0, -v22
	v_sub_f32_e32 v41, v51, v54
	v_fmamk_f32 v29, v48, 0x3f3504f3, v39
	v_sub_f32_e32 v37, v44, v37
	v_fmac_f32_e32 v30, 0xbf3504f3, v48
	v_fma_f32 v3, v3, 2.0, -v36
	v_fma_f32 v46, v50, 2.0, -v33
	;; [unrolled: 1-line block ×3, first 2 shown]
	v_sub_f32_e32 v48, v4, v45
	v_fma_f32 v45, v52, 2.0, -v35
	v_fma_f32 v20, v26, 2.0, -v14
	;; [unrolled: 1-line block ×4, first 2 shown]
	v_sub_f32_e32 v51, v38, v33
	v_sub_f32_e32 v55, v41, v35
	v_fmac_f32_e32 v29, 0x3f3504f3, v49
	v_add_f32_e32 v49, v36, v34
	v_fma_f32 v34, v44, 2.0, -v37
	v_sub_f32_e32 v46, v3, v46
	v_sub_f32_e32 v45, v42, v45
	v_add_f32_e32 v53, v40, v37
	v_fma_f32 v56, v38, 2.0, -v51
	v_fma_f32 v38, v41, 2.0, -v55
	v_sub_f32_e32 v54, v47, v34
	v_fma_f32 v44, v3, 2.0, -v46
	v_fma_f32 v50, v4, 2.0, -v48
	;; [unrolled: 1-line block ×5, first 2 shown]
	v_fmamk_f32 v36, v38, 0xbf3504f3, v56
	v_fma_f32 v34, v47, 2.0, -v54
	v_fma_f32 v3, v39, 2.0, -v29
	v_sub_f32_e32 v33, v44, v4
	v_fmamk_f32 v35, v40, 0xbf3504f3, v52
	v_fmac_f32_e32 v36, 0xbf3504f3, v40
	v_fmamk_f32 v39, v53, 0x3f3504f3, v49
	v_fmamk_f32 v40, v55, 0x3f3504f3, v51
	v_sub_f32_e32 v5, v7, v5
	v_sub_f32_e32 v34, v50, v34
	v_fma_f32 v4, v43, 2.0, -v30
	v_fma_f32 v37, v44, 2.0, -v33
	v_fmac_f32_e32 v35, 0x3f3504f3, v38
	v_add_f32_e32 v43, v46, v54
	v_sub_f32_e32 v44, v48, v45
	v_fmac_f32_e32 v39, 0x3f3504f3, v55
	v_fmac_f32_e32 v40, 0xbf3504f3, v53
	v_fma_f32 v7, v7, 2.0, -v5
	v_fma_f32 v38, v50, 2.0, -v34
	v_fma_f32 v41, v52, 2.0, -v35
	v_fma_f32 v42, v56, 2.0, -v36
	v_fma_f32 v45, v46, 2.0, -v43
	v_fma_f32 v46, v48, 2.0, -v44
	v_fma_f32 v47, v49, 2.0, -v39
	v_fma_f32 v48, v51, 2.0, -v40
	ds_write2_b64 v177, v[15:16], v[19:20] offset0:102 offset1:153
	ds_write2_b64 v177, v[5:6], v[0:1] offset0:204 offset1:255
	v_add_nc_u32_e32 v0, 0x400, v186
	ds_write2_b64 v2, v[11:12], v[13:14] offset0:50 offset1:101
	ds_write2_b64 v177, v[7:8], v[23:24] offset1:17
	ds_write2_b64 v186, v[25:26], v[31:32] offset0:51 offset1:102
	ds_write2_b64 v186, v[3:4], v[21:22] offset0:153 offset1:204
	;; [unrolled: 1-line block ×3, first 2 shown]
	v_add_nc_u32_e32 v0, 0x400, v131
	ds_write_b64 v186, v[29:30] offset:2856
	ds_write2_b64 v177, v[37:38], v[9:10] offset0:34 offset1:51
	ds_write2_b64 v131, v[41:42], v[45:46] offset0:51 offset1:102
	;; [unrolled: 1-line block ×4, first 2 shown]
	ds_write_b64 v131, v[39:40] offset:2856
	s_waitcnt lgkmcnt(0)
	s_barrier
	buffer_gl0_inv
	buffer_load_dword v33, off, s[20:23], 0 ; 4-byte Folded Reload
	ds_read2_b64 v[3:6], v177 offset1:24
	v_mad_u64_u32 v[15:16], null, s8, v143, 0
	s_waitcnt lgkmcnt(0)
	v_mul_f32_e32 v7, v181, v4
	v_mul_f32_e32 v0, v181, v3
	;; [unrolled: 1-line block ×3, first 2 shown]
	v_fmac_f32_e32 v7, v180, v3
	v_fma_f32 v8, v180, v4, -v0
	v_fmac_f32_e32 v13, v139, v5
	v_mad_u64_u32 v[0:1], null, s10, v138, 0
	v_cvt_f64_f32_e32 v[3:4], v7
	v_cvt_f64_f32_e32 v[11:12], v8
	ds_read2_b64 v[7:10], v177 offset0:48 offset1:72
	v_mul_f32_e32 v5, v140, v5
	v_cvt_f64_f32_e32 v[13:14], v13
	v_fma_f32 v17, v139, v6, -v5
	v_mad_u64_u32 v[5:6], null, s11, v138, v[1:2]
	v_cvt_f64_f32_e32 v[17:18], v17
	v_mov_b32_e32 v1, v5
	v_mul_f64 v[19:20], v[3:4], s[4:5]
	v_mov_b32_e32 v3, v16
	s_waitcnt lgkmcnt(0)
	v_mul_f32_e32 v4, v147, v8
	v_mul_f32_e32 v5, v147, v7
	v_mul_f64 v[11:12], v[11:12], s[4:5]
	v_mul_f32_e32 v16, v142, v10
	v_lshlrev_b64 v[0:1], 3, v[0:1]
	v_mad_u64_u32 v[21:22], null, s9, v143, v[3:4]
	v_fmac_f32_e32 v4, v146, v7
	v_fma_f32 v3, v146, v8, -v5
	v_mul_f32_e32 v5, v142, v9
	v_mul_f64 v[7:8], v[13:14], s[4:5]
	v_fmac_f32_e32 v16, v141, v9
	v_cvt_f64_f32_e32 v[13:14], v4
	v_cvt_f64_f32_e32 v[22:23], v3
	v_fma_f32 v24, v141, v10, -v5
	ds_read2_b64 v[3:6], v177 offset0:96 offset1:120
	v_cvt_f64_f32_e32 v[9:10], v16
	v_mov_b32_e32 v16, v21
	v_mul_f64 v[17:18], v[17:18], s[4:5]
	v_cvt_f64_f32_e32 v[24:25], v24
	v_add_co_u32 v38, s0, s2, v0
	v_lshlrev_b64 v[15:16], 3, v[15:16]
	v_add_co_ci_u32_e64 v39, s0, s3, v1, s0
	v_cvt_f32_f64_e32 v19, v[19:20]
	v_cvt_f32_f64_e32 v20, v[11:12]
	v_add_co_u32 v0, s0, v38, v15
	v_add_co_ci_u32_e64 v1, s0, v39, v16, s0
	v_cvt_f32_f64_e32 v15, v[7:8]
	s_mul_i32 s0, s9, 24
	v_mul_f64 v[11:12], v[13:14], s[4:5]
	v_mul_f64 v[13:14], v[22:23], s[4:5]
	s_waitcnt lgkmcnt(0)
	v_mul_f32_e32 v23, v179, v4
	v_mul_f32_e32 v7, v179, v3
	s_add_i32 s1, s1, s0
	s_mul_i32 s0, s8, 24
	v_cvt_f32_f64_e32 v16, v[17:18]
	v_fmac_f32_e32 v23, v178, v3
	v_fma_f32 v7, v178, v4, -v7
	v_mul_f64 v[21:22], v[24:25], s[4:5]
	v_mul_f64 v[17:18], v[9:10], s[4:5]
	s_lshl_b64 s[2:3], s[0:1], 3
	v_cvt_f64_f32_e32 v[3:4], v23
	v_cvt_f64_f32_e32 v[23:24], v7
	ds_read2_b64 v[7:10], v177 offset0:144 offset1:168
	v_add_co_u32 v25, s0, v0, s2
	v_add_co_ci_u32_e64 v26, s0, s3, v1, s0
	v_mul_f32_e32 v29, v128, v6
	v_mul_f32_e32 v30, v128, v5
	s_mul_hi_u32 s1, s8, 0x180
	v_cvt_f32_f64_e32 v11, v[11:12]
	v_cvt_f32_f64_e32 v12, v[13:14]
	v_add_co_u32 v13, s0, v25, s2
	v_add_co_ci_u32_e64 v14, s0, s3, v26, s0
	v_fmac_f32_e32 v29, v127, v5
	v_fma_f32 v5, v127, v6, -v30
	v_add_co_u32 v36, s0, v13, s2
	v_cvt_f32_f64_e32 v17, v[17:18]
	v_cvt_f32_f64_e32 v18, v[21:22]
	v_mul_f64 v[21:22], v[3:4], s[4:5]
	v_mul_f64 v[23:24], v[23:24], s[4:5]
	s_waitcnt lgkmcnt(0)
	v_mul_f32_e32 v4, v123, v8
	v_mul_f32_e32 v6, v123, v7
	v_add_co_ci_u32_e64 v37, s0, s3, v14, s0
	v_cvt_f64_f32_e32 v[31:32], v5
	v_fmac_f32_e32 v4, v122, v7
	v_fma_f32 v7, v122, v8, -v6
	v_cvt_f64_f32_e32 v[29:30], v29
	v_cvt_f64_f32_e32 v[7:8], v7
	s_waitcnt vmcnt(0)
	v_mad_u64_u32 v[27:28], null, s8, v33, 0
	v_mov_b32_e32 v3, v28
	v_mad_u64_u32 v[33:34], null, s9, v33, v[3:4]
	v_cvt_f64_f32_e32 v[34:35], v4
	ds_read2_b64 v[3:6], v177 offset0:192 offset1:216
	global_store_dwordx2 v[0:1], v[19:20], off
	global_store_dwordx2 v[25:26], v[15:16], off
	;; [unrolled: 1-line block ×4, first 2 shown]
	v_cvt_f32_f64_e32 v1, v[23:24]
	s_clause 0x1
	buffer_load_dword v24, off, s[20:23], 0 offset:20
	buffer_load_dword v25, off, s[20:23], 0 offset:24
	v_cvt_f32_f64_e32 v0, v[21:22]
	v_mul_f32_e32 v19, v149, v10
	v_mul_f32_e32 v20, v149, v9
	v_mul_f64 v[11:12], v[29:30], s[4:5]
	v_mul_f64 v[15:16], v[31:32], s[4:5]
	v_mov_b32_e32 v28, v33
	v_fmac_f32_e32 v19, v148, v9
	v_fma_f32 v9, v148, v10, -v20
	v_lshlrev_b64 v[13:14], 3, v[27:28]
	v_cvt_f64_f32_e32 v[19:20], v19
	v_mad_u64_u32 v[27:28], null, s8, v120, 0
	v_add_co_u32 v13, s0, v38, v13
	v_mul_f64 v[17:18], v[34:35], s[4:5]
	v_add_co_ci_u32_e64 v14, s0, v39, v14, s0
	s_mul_i32 s0, s9, 0x180
	s_add_i32 s1, s1, s0
	global_store_dwordx2 v[13:14], v[0:1], off
	v_cvt_f32_f64_e32 v11, v[11:12]
	v_cvt_f32_f64_e32 v12, v[15:16]
	v_add_co_u32 v15, s0, v36, s6
	v_add_co_ci_u32_e64 v16, s0, s1, v37, s0
	v_mov_b32_e32 v0, v28
	v_mul_f64 v[19:20], v[19:20], s[4:5]
	v_mad_u64_u32 v[0:1], null, s9, v120, v[0:1]
	v_cvt_f32_f64_e32 v17, v[17:18]
	v_mov_b32_e32 v28, v0
	s_waitcnt vmcnt(0) lgkmcnt(0)
	v_mul_f32_e32 v23, v25, v4
	v_mul_f32_e32 v21, v25, v3
	v_fmac_f32_e32 v23, v24, v3
	v_fma_f32 v10, v24, v4, -v21
	v_mul_f64 v[3:4], v[7:8], s[4:5]
	v_add_nc_u32_e32 v7, 0x400, v177
	v_cvt_f64_f32_e32 v[21:22], v9
	v_cvt_f64_f32_e32 v[23:24], v23
	;; [unrolled: 1-line block ×3, first 2 shown]
	ds_read2_b64 v[7:10], v7 offset0:112 offset1:136
	v_cvt_f32_f64_e32 v18, v[3:4]
	v_mul_f32_e32 v3, v145, v6
	v_mul_f32_e32 v4, v145, v5
	v_mul_f64 v[21:22], v[21:22], s[4:5]
	v_mul_f64 v[23:24], v[23:24], s[4:5]
	;; [unrolled: 1-line block ×3, first 2 shown]
	v_fmac_f32_e32 v3, v144, v5
	v_fma_f32 v4, v144, v6, -v4
	s_waitcnt lgkmcnt(0)
	v_mul_f32_e32 v5, v113, v8
	v_mul_f32_e32 v6, v113, v7
	v_cvt_f64_f32_e32 v[29:30], v3
	v_cvt_f64_f32_e32 v[31:32], v4
	v_fmac_f32_e32 v5, v112, v7
	v_fma_f32 v3, v112, v8, -v6
	v_add_co_u32 v7, s0, v15, s2
	v_add_co_ci_u32_e64 v8, s0, s3, v16, s0
	v_cvt_f64_f32_e32 v[33:34], v5
	v_cvt_f64_f32_e32 v[35:36], v3
	ds_read2_b64 v[3:6], v2 offset0:32 offset1:56
	global_store_dwordx2 v[15:16], v[11:12], off
	global_store_dwordx2 v[7:8], v[17:18], off
	v_cvt_f32_f64_e32 v11, v[19:20]
	v_add_co_u32 v13, s0, v7, s2
	v_cvt_f32_f64_e32 v12, v[21:22]
	v_cvt_f32_f64_e32 v15, v[23:24]
	;; [unrolled: 1-line block ×3, first 2 shown]
	v_mul_f32_e32 v23, v135, v10
	v_mul_f32_e32 v7, v135, v9
	v_add_co_ci_u32_e64 v14, s0, s3, v8, s0
	v_mul_f64 v[0:1], v[29:30], s[4:5]
	v_fmac_f32_e32 v23, v134, v9
	v_fma_f32 v9, v134, v10, -v7
	v_lshlrev_b64 v[7:8], 3, v[27:28]
	v_mul_f64 v[17:18], v[31:32], s[4:5]
	v_cvt_f64_f32_e32 v[23:24], v23
	v_cvt_f64_f32_e32 v[25:26], v9
	s_waitcnt lgkmcnt(0)
	v_mul_f32_e32 v29, v133, v4
	v_mul_f64 v[19:20], v[33:34], s[4:5]
	v_mul_f64 v[21:22], v[35:36], s[4:5]
	v_fmac_f32_e32 v29, v132, v3
	v_mul_f32_e32 v3, v133, v3
	v_cvt_f64_f32_e32 v[27:28], v29
	v_fma_f32 v9, v132, v4, -v3
	v_add_co_u32 v3, s0, v38, v7
	v_add_co_ci_u32_e64 v4, s0, v39, v8, s0
	v_cvt_f64_f32_e32 v[29:30], v9
	ds_read2_b64 v[7:10], v2 offset0:80 offset1:104
	global_store_dwordx2 v[13:14], v[11:12], off
	global_store_dwordx2 v[3:4], v[15:16], off
	ds_read_b64 v[15:16], v177 offset:3072
	s_clause 0x3
	buffer_load_dword v31, off, s[20:23], 0 offset:4
	buffer_load_dword v32, off, s[20:23], 0 offset:8
	;; [unrolled: 1-line block ×4, first 2 shown]
	v_cvt_f32_f64_e32 v0, v[0:1]
	v_cvt_f32_f64_e32 v1, v[17:18]
	;; [unrolled: 1-line block ×3, first 2 shown]
	v_mul_f64 v[17:18], v[23:24], s[4:5]
	v_cvt_f32_f64_e32 v11, v[19:20]
	v_mul_f64 v[19:20], v[25:26], s[4:5]
	v_add_co_u32 v3, s0, v13, s6
	v_add_co_ci_u32_e64 v4, s0, s1, v14, s0
	v_mul_f64 v[21:22], v[27:28], s[4:5]
	v_mad_u64_u32 v[13:14], null, s8, v119, 0
	s_waitcnt lgkmcnt(1)
	v_mul_f32_e32 v27, v126, v8
	v_mul_f64 v[23:24], v[29:30], s[4:5]
	v_mul_f32_e32 v29, v130, v10
	v_fmac_f32_e32 v27, v125, v7
	v_mul_f32_e32 v7, v126, v7
	v_fmac_f32_e32 v29, v129, v9
	v_mul_f32_e32 v9, v130, v9
	v_cvt_f64_f32_e32 v[27:28], v27
	v_fma_f32 v7, v125, v8, -v7
	v_cvt_f64_f32_e32 v[29:30], v29
	v_fma_f32 v33, v129, v10, -v9
	s_waitcnt lgkmcnt(0)
	v_mad_u64_u32 v[9:10], null, s9, v119, v[14:15]
	v_cvt_f64_f32_e32 v[7:8], v7
	v_cvt_f32_f64_e32 v10, v[19:20]
	v_mov_b32_e32 v14, v9
	v_cvt_f32_f64_e32 v9, v[17:18]
	v_cvt_f32_f64_e32 v17, v[21:22]
	;; [unrolled: 1-line block ×3, first 2 shown]
	v_lshlrev_b64 v[13:14], 3, v[13:14]
	v_mul_f64 v[21:22], v[27:28], s[4:5]
	v_mul_f64 v[23:24], v[29:30], s[4:5]
	;; [unrolled: 1-line block ×3, first 2 shown]
	s_waitcnt vmcnt(2)
	v_mul_f32_e32 v25, v32, v6
	v_mul_f32_e32 v26, v32, v5
	s_waitcnt vmcnt(0)
	v_mul_f32_e32 v32, v35, v15
	v_fmac_f32_e32 v25, v31, v5
	v_fma_f32 v26, v31, v6, -v26
	v_mul_f32_e32 v31, v35, v16
	v_add_co_u32 v35, s0, v3, s2
	v_cvt_f64_f32_e32 v[5:6], v25
	v_cvt_f64_f32_e32 v[25:26], v26
	v_fmac_f32_e32 v31, v34, v15
	v_fma_f32 v34, v34, v16, -v32
	v_cvt_f64_f32_e32 v[15:16], v33
	v_add_co_ci_u32_e64 v36, s0, s3, v4, s0
	v_cvt_f64_f32_e32 v[31:32], v31
	v_cvt_f64_f32_e32 v[33:34], v34
	v_mul_f64 v[5:6], v[5:6], s[4:5]
	v_mul_f64 v[19:20], v[25:26], s[4:5]
	v_add_co_u32 v25, s0, v35, s2
	v_mul_f64 v[15:16], v[15:16], s[4:5]
	v_add_co_ci_u32_e64 v26, s0, s3, v36, s0
	v_mul_f64 v[27:28], v[31:32], s[4:5]
	v_mul_f64 v[29:30], v[33:34], s[4:5]
	v_mad_u64_u32 v[31:32], null, s8, v121, 0
	v_add_co_u32 v13, s0, v38, v13
	v_add_co_ci_u32_e64 v14, s0, v39, v14, s0
	global_store_dwordx2 v[3:4], v[0:1], off
	global_store_dwordx2 v[35:36], v[11:12], off
	;; [unrolled: 1-line block ×4, first 2 shown]
	v_add_co_u32 v11, s0, v25, s6
	v_mov_b32_e32 v0, v32
	v_add_co_ci_u32_e64 v12, s0, s1, v26, s0
	v_add_co_u32 v13, s0, v11, s2
	v_mad_u64_u32 v[0:1], null, s9, v121, v[0:1]
	v_cvt_f32_f64_e32 v3, v[5:6]
	v_cvt_f32_f64_e32 v4, v[19:20]
	;; [unrolled: 1-line block ×8, first 2 shown]
	v_mov_b32_e32 v32, v0
	v_add_co_ci_u32_e64 v14, s0, s3, v12, s0
	v_add_co_u32 v0, s0, v13, s2
	v_lshlrev_b64 v[15:16], 3, v[31:32]
	v_add_co_ci_u32_e64 v1, s0, s3, v14, s0
	v_add_co_u32 v15, s0, v38, v15
	v_add_co_ci_u32_e64 v16, s0, v39, v16, s0
	global_store_dwordx2 v[11:12], v[3:4], off
	global_store_dwordx2 v[13:14], v[5:6], off
	;; [unrolled: 1-line block ×4, first 2 shown]
	s_and_b32 exec_lo, exec_lo, vcc_lo
	s_cbranch_execz .LBB0_15
; %bb.14:
	global_load_dwordx2 v[7:8], v[114:115], off offset:136
	ds_read2_b64 v[3:6], v177 offset0:17 offset1:41
	v_mad_u64_u32 v[0:1], null, 0xfffff548, s8, v[0:1]
	s_mul_i32 s0, s9, 0xfffff548
	s_sub_i32 s0, s0, s8
	v_add_nc_u32_e32 v1, s0, v1
	s_waitcnt vmcnt(0) lgkmcnt(0)
	v_mul_f32_e32 v9, v4, v8
	v_mul_f32_e32 v8, v3, v8
	v_fmac_f32_e32 v9, v3, v7
	v_fma_f32 v7, v7, v4, -v8
	v_cvt_f64_f32_e32 v[3:4], v9
	v_cvt_f64_f32_e32 v[7:8], v7
	v_mul_f64 v[3:4], v[3:4], s[4:5]
	v_mul_f64 v[7:8], v[7:8], s[4:5]
	v_cvt_f32_f64_e32 v3, v[3:4]
	v_cvt_f32_f64_e32 v4, v[7:8]
	global_store_dwordx2 v[0:1], v[3:4], off
	global_load_dwordx2 v[3:4], v[114:115], off offset:328
	v_add_co_u32 v0, vcc_lo, v0, s2
	v_add_co_ci_u32_e32 v1, vcc_lo, s3, v1, vcc_lo
	s_waitcnt vmcnt(0)
	v_mul_f32_e32 v7, v6, v4
	v_mul_f32_e32 v4, v5, v4
	v_fmac_f32_e32 v7, v5, v3
	v_fma_f32 v5, v3, v6, -v4
	v_cvt_f64_f32_e32 v[3:4], v7
	v_cvt_f64_f32_e32 v[5:6], v5
	v_mul_f64 v[3:4], v[3:4], s[4:5]
	v_mul_f64 v[5:6], v[5:6], s[4:5]
	v_cvt_f32_f64_e32 v3, v[3:4]
	v_cvt_f32_f64_e32 v4, v[5:6]
	global_store_dwordx2 v[0:1], v[3:4], off
	global_load_dwordx2 v[7:8], v[114:115], off offset:520
	ds_read2_b64 v[3:6], v177 offset0:65 offset1:89
	v_add_co_u32 v0, vcc_lo, v0, s2
	v_add_co_ci_u32_e32 v1, vcc_lo, s3, v1, vcc_lo
	s_waitcnt vmcnt(0) lgkmcnt(0)
	v_mul_f32_e32 v9, v4, v8
	v_mul_f32_e32 v8, v3, v8
	v_fmac_f32_e32 v9, v3, v7
	v_fma_f32 v7, v7, v4, -v8
	v_cvt_f64_f32_e32 v[3:4], v9
	v_cvt_f64_f32_e32 v[7:8], v7
	v_mul_f64 v[3:4], v[3:4], s[4:5]
	v_mul_f64 v[7:8], v[7:8], s[4:5]
	v_cvt_f32_f64_e32 v3, v[3:4]
	v_cvt_f32_f64_e32 v4, v[7:8]
	global_store_dwordx2 v[0:1], v[3:4], off
	global_load_dwordx2 v[3:4], v[114:115], off offset:712
	v_add_co_u32 v0, vcc_lo, v0, s2
	v_add_co_ci_u32_e32 v1, vcc_lo, s3, v1, vcc_lo
	s_waitcnt vmcnt(0)
	v_mul_f32_e32 v7, v6, v4
	v_mul_f32_e32 v4, v5, v4
	v_fmac_f32_e32 v7, v5, v3
	v_fma_f32 v5, v3, v6, -v4
	v_cvt_f64_f32_e32 v[3:4], v7
	v_cvt_f64_f32_e32 v[5:6], v5
	v_mul_f64 v[3:4], v[3:4], s[4:5]
	v_mul_f64 v[5:6], v[5:6], s[4:5]
	v_cvt_f32_f64_e32 v3, v[3:4]
	v_cvt_f32_f64_e32 v4, v[5:6]
	global_store_dwordx2 v[0:1], v[3:4], off
	global_load_dwordx2 v[7:8], v[114:115], off offset:904
	ds_read2_b64 v[3:6], v177 offset0:113 offset1:137
	v_add_co_u32 v0, vcc_lo, v0, s2
	v_add_co_ci_u32_e32 v1, vcc_lo, s3, v1, vcc_lo
	;; [unrolled: 31-line block ×6, first 2 shown]
	s_waitcnt vmcnt(0) lgkmcnt(0)
	v_mul_f32_e32 v9, v4, v8
	v_mul_f32_e32 v8, v3, v8
	v_fmac_f32_e32 v9, v3, v7
	v_fma_f32 v7, v7, v4, -v8
	v_cvt_f64_f32_e32 v[3:4], v9
	v_cvt_f64_f32_e32 v[7:8], v7
	v_mul_f64 v[3:4], v[3:4], s[4:5]
	v_mul_f64 v[7:8], v[7:8], s[4:5]
	v_cvt_f32_f64_e32 v3, v[3:4]
	v_cvt_f32_f64_e32 v4, v[7:8]
	global_store_dwordx2 v[0:1], v[3:4], off
	global_load_dwordx2 v[3:4], v[136:137], off offset:584
	s_waitcnt vmcnt(0)
	v_mul_f32_e32 v7, v6, v4
	v_mul_f32_e32 v4, v5, v4
	v_fmac_f32_e32 v7, v5, v3
	v_fma_f32 v5, v3, v6, -v4
	v_cvt_f64_f32_e32 v[3:4], v7
	v_cvt_f64_f32_e32 v[5:6], v5
	v_mul_f64 v[3:4], v[3:4], s[4:5]
	v_mul_f64 v[5:6], v[5:6], s[4:5]
	v_cvt_f32_f64_e32 v3, v[3:4]
	v_cvt_f32_f64_e32 v4, v[5:6]
	v_add_co_u32 v5, vcc_lo, v0, s2
	v_add_co_ci_u32_e32 v6, vcc_lo, s3, v1, vcc_lo
	global_store_dwordx2 v[5:6], v[3:4], off
	global_load_dwordx2 v[7:8], v[136:137], off offset:776
	ds_read2_b64 v[0:3], v2 offset0:97 offset1:121
	s_waitcnt vmcnt(0) lgkmcnt(0)
	v_mul_f32_e32 v4, v1, v8
	v_mul_f32_e32 v8, v0, v8
	v_fmac_f32_e32 v4, v0, v7
	v_fma_f32 v7, v7, v1, -v8
	v_cvt_f64_f32_e32 v[0:1], v4
	v_cvt_f64_f32_e32 v[7:8], v7
	v_add_co_u32 v4, vcc_lo, v5, s2
	v_add_co_ci_u32_e32 v5, vcc_lo, s3, v6, vcc_lo
	v_mul_f64 v[0:1], v[0:1], s[4:5]
	v_mul_f64 v[7:8], v[7:8], s[4:5]
	v_cvt_f32_f64_e32 v0, v[0:1]
	v_cvt_f32_f64_e32 v1, v[7:8]
	global_store_dwordx2 v[4:5], v[0:1], off
	global_load_dwordx2 v[0:1], v[136:137], off offset:968
	s_waitcnt vmcnt(0)
	v_mul_f32_e32 v6, v3, v1
	v_mul_f32_e32 v1, v2, v1
	v_fmac_f32_e32 v6, v2, v0
	v_fma_f32 v2, v0, v3, -v1
	v_cvt_f64_f32_e32 v[0:1], v6
	v_cvt_f64_f32_e32 v[2:3], v2
	v_mul_f64 v[0:1], v[0:1], s[4:5]
	v_mul_f64 v[2:3], v[2:3], s[4:5]
	v_cvt_f32_f64_e32 v0, v[0:1]
	v_cvt_f32_f64_e32 v1, v[2:3]
	v_add_co_u32 v2, vcc_lo, v4, s2
	v_add_co_ci_u32_e32 v3, vcc_lo, s3, v5, vcc_lo
	ds_read_b64 v[4:5], v177 offset:3208
	global_store_dwordx2 v[2:3], v[0:1], off
	global_load_dwordx2 v[0:1], v[136:137], off offset:1160
	v_add_co_u32 v2, vcc_lo, v2, s2
	v_add_co_ci_u32_e32 v3, vcc_lo, s3, v3, vcc_lo
	s_waitcnt vmcnt(0) lgkmcnt(0)
	v_mul_f32_e32 v6, v5, v1
	v_mul_f32_e32 v1, v4, v1
	v_fmac_f32_e32 v6, v4, v0
	v_fma_f32 v4, v0, v5, -v1
	v_cvt_f64_f32_e32 v[0:1], v6
	v_cvt_f64_f32_e32 v[4:5], v4
	v_mul_f64 v[0:1], v[0:1], s[4:5]
	v_mul_f64 v[4:5], v[4:5], s[4:5]
	v_cvt_f32_f64_e32 v0, v[0:1]
	v_cvt_f32_f64_e32 v1, v[4:5]
	global_store_dwordx2 v[2:3], v[0:1], off
.LBB0_15:
	s_endpgm
	.section	.rodata,"a",@progbits
	.p2align	6, 0x0
	.amdhsa_kernel bluestein_single_fwd_len408_dim1_sp_op_CI_CI
		.amdhsa_group_segment_fixed_size 9792
		.amdhsa_private_segment_fixed_size 152
		.amdhsa_kernarg_size 104
		.amdhsa_user_sgpr_count 6
		.amdhsa_user_sgpr_private_segment_buffer 1
		.amdhsa_user_sgpr_dispatch_ptr 0
		.amdhsa_user_sgpr_queue_ptr 0
		.amdhsa_user_sgpr_kernarg_segment_ptr 1
		.amdhsa_user_sgpr_dispatch_id 0
		.amdhsa_user_sgpr_flat_scratch_init 0
		.amdhsa_user_sgpr_private_segment_size 0
		.amdhsa_wavefront_size32 1
		.amdhsa_uses_dynamic_stack 0
		.amdhsa_system_sgpr_private_segment_wavefront_offset 1
		.amdhsa_system_sgpr_workgroup_id_x 1
		.amdhsa_system_sgpr_workgroup_id_y 0
		.amdhsa_system_sgpr_workgroup_id_z 0
		.amdhsa_system_sgpr_workgroup_info 0
		.amdhsa_system_vgpr_workitem_id 0
		.amdhsa_next_free_vgpr 256
		.amdhsa_next_free_sgpr 24
		.amdhsa_reserve_vcc 1
		.amdhsa_reserve_flat_scratch 0
		.amdhsa_float_round_mode_32 0
		.amdhsa_float_round_mode_16_64 0
		.amdhsa_float_denorm_mode_32 3
		.amdhsa_float_denorm_mode_16_64 3
		.amdhsa_dx10_clamp 1
		.amdhsa_ieee_mode 1
		.amdhsa_fp16_overflow 0
		.amdhsa_workgroup_processor_mode 1
		.amdhsa_memory_ordered 1
		.amdhsa_forward_progress 0
		.amdhsa_shared_vgpr_count 0
		.amdhsa_exception_fp_ieee_invalid_op 0
		.amdhsa_exception_fp_denorm_src 0
		.amdhsa_exception_fp_ieee_div_zero 0
		.amdhsa_exception_fp_ieee_overflow 0
		.amdhsa_exception_fp_ieee_underflow 0
		.amdhsa_exception_fp_ieee_inexact 0
		.amdhsa_exception_int_div_zero 0
	.end_amdhsa_kernel
	.text
.Lfunc_end0:
	.size	bluestein_single_fwd_len408_dim1_sp_op_CI_CI, .Lfunc_end0-bluestein_single_fwd_len408_dim1_sp_op_CI_CI
                                        ; -- End function
	.section	.AMDGPU.csdata,"",@progbits
; Kernel info:
; codeLenInByte = 34860
; NumSgprs: 26
; NumVgprs: 256
; ScratchSize: 152
; MemoryBound: 0
; FloatMode: 240
; IeeeMode: 1
; LDSByteSize: 9792 bytes/workgroup (compile time only)
; SGPRBlocks: 3
; VGPRBlocks: 31
; NumSGPRsForWavesPerEU: 26
; NumVGPRsForWavesPerEU: 256
; Occupancy: 4
; WaveLimiterHint : 1
; COMPUTE_PGM_RSRC2:SCRATCH_EN: 1
; COMPUTE_PGM_RSRC2:USER_SGPR: 6
; COMPUTE_PGM_RSRC2:TRAP_HANDLER: 0
; COMPUTE_PGM_RSRC2:TGID_X_EN: 1
; COMPUTE_PGM_RSRC2:TGID_Y_EN: 0
; COMPUTE_PGM_RSRC2:TGID_Z_EN: 0
; COMPUTE_PGM_RSRC2:TIDIG_COMP_CNT: 0
	.text
	.p2alignl 6, 3214868480
	.fill 48, 4, 3214868480
	.type	__hip_cuid_156fc16f31a44cb4,@object ; @__hip_cuid_156fc16f31a44cb4
	.section	.bss,"aw",@nobits
	.globl	__hip_cuid_156fc16f31a44cb4
__hip_cuid_156fc16f31a44cb4:
	.byte	0                               ; 0x0
	.size	__hip_cuid_156fc16f31a44cb4, 1

	.ident	"AMD clang version 19.0.0git (https://github.com/RadeonOpenCompute/llvm-project roc-6.4.0 25133 c7fe45cf4b819c5991fe208aaa96edf142730f1d)"
	.section	".note.GNU-stack","",@progbits
	.addrsig
	.addrsig_sym __hip_cuid_156fc16f31a44cb4
	.amdgpu_metadata
---
amdhsa.kernels:
  - .args:
      - .actual_access:  read_only
        .address_space:  global
        .offset:         0
        .size:           8
        .value_kind:     global_buffer
      - .actual_access:  read_only
        .address_space:  global
        .offset:         8
        .size:           8
        .value_kind:     global_buffer
      - .actual_access:  read_only
        .address_space:  global
        .offset:         16
        .size:           8
        .value_kind:     global_buffer
      - .actual_access:  read_only
        .address_space:  global
        .offset:         24
        .size:           8
        .value_kind:     global_buffer
      - .actual_access:  read_only
        .address_space:  global
        .offset:         32
        .size:           8
        .value_kind:     global_buffer
      - .offset:         40
        .size:           8
        .value_kind:     by_value
      - .address_space:  global
        .offset:         48
        .size:           8
        .value_kind:     global_buffer
      - .address_space:  global
        .offset:         56
        .size:           8
        .value_kind:     global_buffer
      - .address_space:  global
        .offset:         64
        .size:           8
        .value_kind:     global_buffer
      - .address_space:  global
        .offset:         72
        .size:           8
        .value_kind:     global_buffer
      - .offset:         80
        .size:           4
        .value_kind:     by_value
      - .address_space:  global
        .offset:         88
        .size:           8
        .value_kind:     global_buffer
      - .address_space:  global
        .offset:         96
        .size:           8
        .value_kind:     global_buffer
    .group_segment_fixed_size: 9792
    .kernarg_segment_align: 8
    .kernarg_segment_size: 104
    .language:       OpenCL C
    .language_version:
      - 2
      - 0
    .max_flat_workgroup_size: 51
    .name:           bluestein_single_fwd_len408_dim1_sp_op_CI_CI
    .private_segment_fixed_size: 152
    .sgpr_count:     26
    .sgpr_spill_count: 0
    .symbol:         bluestein_single_fwd_len408_dim1_sp_op_CI_CI.kd
    .uniform_work_group_size: 1
    .uses_dynamic_stack: false
    .vgpr_count:     256
    .vgpr_spill_count: 37
    .wavefront_size: 32
    .workgroup_processor_mode: 1
amdhsa.target:   amdgcn-amd-amdhsa--gfx1030
amdhsa.version:
  - 1
  - 2
...

	.end_amdgpu_metadata
